;; amdgpu-corpus repo=ROCm/rocFFT kind=compiled arch=gfx950 opt=O3
	.text
	.amdgcn_target "amdgcn-amd-amdhsa--gfx950"
	.amdhsa_code_object_version 6
	.protected	bluestein_single_back_len364_dim1_sp_op_CI_CI ; -- Begin function bluestein_single_back_len364_dim1_sp_op_CI_CI
	.globl	bluestein_single_back_len364_dim1_sp_op_CI_CI
	.p2align	8
	.type	bluestein_single_back_len364_dim1_sp_op_CI_CI,@function
bluestein_single_back_len364_dim1_sp_op_CI_CI: ; @bluestein_single_back_len364_dim1_sp_op_CI_CI
; %bb.0:
	s_load_dwordx4 s[8:11], s[0:1], 0x28
	v_mul_u32_u24_e32 v1, 0x4ed, v0
	v_add_u32_sdwa v46, s2, v1 dst_sel:DWORD dst_unused:UNUSED_PAD src0_sel:DWORD src1_sel:WORD_1
	v_mov_b32_e32 v47, 0
	s_waitcnt lgkmcnt(0)
	v_cmp_gt_u64_e32 vcc, s[8:9], v[46:47]
	s_and_saveexec_b64 s[2:3], vcc
	s_cbranch_execz .LBB0_25
; %bb.1:
	s_load_dwordx2 s[8:9], s[0:1], 0x0
	s_load_dwordx2 s[12:13], s[0:1], 0x38
	v_mov_b32_e32 v2, 52
	v_mul_lo_u16_sdwa v1, v1, v2 dst_sel:DWORD dst_unused:UNUSED_PAD src0_sel:WORD_1 src1_sel:DWORD
	v_sub_u16_e32 v184, v0, v1
	v_cmp_gt_u16_e32 vcc, 28, v184
	v_lshlrev_b32_e32 v47, 3, v184
	s_and_saveexec_b64 s[2:3], vcc
	s_cbranch_execz .LBB0_3
; %bb.2:
	s_load_dwordx2 s[4:5], s[0:1], 0x18
	v_mov_b32_e32 v0, s10
	v_mov_b32_e32 v1, s11
	;; [unrolled: 1-line block ×3, first 2 shown]
	v_or_b32_e32 v39, 0xe0, v184
	s_waitcnt lgkmcnt(0)
	s_load_dwordx4 s[4:7], s[4:5], 0x0
	s_waitcnt lgkmcnt(0)
	v_mad_u64_u32 v[2:3], s[10:11], s6, v46, 0
	v_mad_u64_u32 v[4:5], s[10:11], s4, v184, 0
	v_mov_b32_e32 v6, v3
	v_mov_b32_e32 v8, v5
	v_mad_u64_u32 v[6:7], s[6:7], s7, v46, v[6:7]
	v_mov_b32_e32 v3, v6
	v_mad_u64_u32 v[6:7], s[6:7], s5, v184, v[8:9]
	v_mov_b32_e32 v5, v6
	v_lshl_add_u64 v[0:1], v[2:3], 3, v[0:1]
	v_lshl_add_u64 v[2:3], v[4:5], 3, v[0:1]
	global_load_dwordx2 v[4:5], v[2:3], off
	v_mad_u64_u32 v[2:3], s[6:7], s4, v52, v[2:3]
	s_mul_i32 s10, s5, 0xe0
	v_add_u32_e32 v3, s10, v3
	v_mad_u64_u32 v[6:7], s[6:7], s4, v52, v[2:3]
	v_add_u32_e32 v7, s10, v7
	v_mad_u64_u32 v[8:9], s[6:7], s4, v52, v[6:7]
	;; [unrolled: 2-line block ×3, first 2 shown]
	v_add_u32_e32 v19, s10, v19
	global_load_dwordx2 v[10:11], v47, s[8:9]
	global_load_dwordx2 v[12:13], v47, s[8:9] offset:224
	global_load_dwordx2 v[14:15], v47, s[8:9] offset:448
	;; [unrolled: 1-line block ×3, first 2 shown]
	global_load_dwordx2 v[20:21], v[2:3], off
	global_load_dwordx2 v[22:23], v[6:7], off
	;; [unrolled: 1-line block ×4, first 2 shown]
	v_mad_u64_u32 v[2:3], s[6:7], s4, v52, v[18:19]
	v_add_u32_e32 v3, s10, v3
	v_mad_u64_u32 v[36:37], s[6:7], s4, v39, 0
	global_load_dwordx2 v[6:7], v[2:3], off
	v_mad_u64_u32 v[2:3], s[6:7], s4, v52, v[2:3]
	v_mov_b32_e32 v38, v37
	v_add_u32_e32 v3, s10, v3
	v_mad_u64_u32 v[38:39], s[6:7], s5, v39, v[38:39]
	global_load_dwordx2 v[8:9], v[2:3], off
	v_mad_u64_u32 v[2:3], s[6:7], s4, v52, v[2:3]
	v_mov_b32_e32 v37, v38
	v_add_u32_e32 v3, s10, v3
	v_lshl_add_u64 v[0:1], v[36:37], 3, v[0:1]
	v_mov_b32_e32 v36, 0x1c0
	global_load_dwordx2 v[18:19], v47, s[8:9] offset:896
	global_load_dwordx2 v[28:29], v[2:3], off
	global_load_dwordx2 v[30:31], v47, s[8:9] offset:1120
	global_load_dwordx2 v[32:33], v47, s[8:9] offset:1344
	;; [unrolled: 1-line block ×3, first 2 shown]
	v_mad_u64_u32 v[2:3], s[6:7], s4, v36, v[2:3]
	s_mulk_i32 s5, 0x1c0
	v_add_u32_e32 v3, s5, v3
	global_load_dwordx2 v[0:1], v[0:1], off
	s_nop 0
	global_load_dwordx2 v[36:37], v47, s[8:9] offset:1792
	global_load_dwordx2 v[38:39], v[2:3], off
	global_load_dwordx2 v[40:41], v47, s[8:9] offset:2016
	v_mad_u64_u32 v[2:3], s[6:7], s4, v52, v[2:3]
	v_add_u32_e32 v3, s10, v3
	global_load_dwordx2 v[42:43], v[2:3], off
	global_load_dwordx2 v[44:45], v47, s[8:9] offset:2240
	v_mad_u64_u32 v[2:3], s[6:7], s4, v52, v[2:3]
	v_add_u32_e32 v3, s10, v3
	;; [unrolled: 4-line block ×3, first 2 shown]
	global_load_dwordx2 v[52:53], v47, s[8:9] offset:2688
	global_load_dwordx2 v[54:55], v[2:3], off
	s_waitcnt vmcnt(24)
	v_mul_f32_e32 v2, v5, v11
	v_mul_f32_e32 v3, v4, v11
	v_fmac_f32_e32 v2, v4, v10
	v_fma_f32 v3, v5, v10, -v3
	s_waitcnt vmcnt(20)
	v_mul_f32_e32 v4, v21, v13
	v_mul_f32_e32 v5, v20, v13
	v_fmac_f32_e32 v4, v20, v12
	v_fma_f32 v5, v21, v12, -v5
	ds_write2_b64 v47, v[2:3], v[4:5] offset1:28
	s_waitcnt vmcnt(19)
	v_mul_f32_e32 v2, v23, v15
	v_mul_f32_e32 v3, v22, v15
	s_waitcnt vmcnt(18)
	v_mul_f32_e32 v4, v25, v17
	v_mul_f32_e32 v5, v24, v17
	v_fmac_f32_e32 v2, v22, v14
	v_fma_f32 v3, v23, v14, -v3
	v_fmac_f32_e32 v4, v24, v16
	v_fma_f32 v5, v25, v16, -v5
	ds_write2_b64 v47, v[2:3], v[4:5] offset0:56 offset1:84
	s_waitcnt vmcnt(14)
	v_mul_f32_e32 v2, v27, v19
	v_mul_f32_e32 v3, v26, v19
	s_waitcnt vmcnt(12)
	v_mul_f32_e32 v4, v7, v31
	v_mul_f32_e32 v5, v6, v31
	v_fmac_f32_e32 v2, v26, v18
	v_fma_f32 v3, v27, v18, -v3
	v_fmac_f32_e32 v4, v6, v30
	v_fma_f32 v5, v7, v30, -v5
	ds_write2_b64 v47, v[2:3], v[4:5] offset0:112 offset1:140
	;; [unrolled: 11-line block ×3, first 2 shown]
	s_waitcnt vmcnt(8)
	v_mul_f32_e32 v2, v1, v37
	v_fmac_f32_e32 v2, v0, v36
	v_mul_f32_e32 v0, v0, v37
	v_fma_f32 v3, v1, v36, -v0
	s_waitcnt vmcnt(6)
	v_mul_f32_e32 v0, v39, v41
	v_mul_f32_e32 v1, v38, v41
	v_fmac_f32_e32 v0, v38, v40
	v_fma_f32 v1, v39, v40, -v1
	ds_write2_b64 v47, v[2:3], v[0:1] offset0:224 offset1:252
	s_waitcnt vmcnt(4)
	v_mul_f32_e32 v0, v43, v45
	v_mul_f32_e32 v1, v42, v45
	s_waitcnt vmcnt(2)
	v_mul_f32_e32 v2, v49, v51
	v_mul_f32_e32 v3, v48, v51
	v_fmac_f32_e32 v0, v42, v44
	v_fma_f32 v1, v43, v44, -v1
	v_fmac_f32_e32 v2, v48, v50
	v_fma_f32 v3, v49, v50, -v3
	v_add_u32_e32 v4, 0x800, v47
	ds_write2_b64 v4, v[0:1], v[2:3] offset0:24 offset1:52
	s_waitcnt vmcnt(0)
	v_mul_f32_e32 v0, v55, v53
	v_mul_f32_e32 v1, v54, v53
	v_fmac_f32_e32 v0, v54, v52
	v_fma_f32 v1, v55, v52, -v1
	ds_write_b64 v47, v[0:1] offset:2688
.LBB0_3:
	s_or_b64 exec, exec, s[2:3]
	s_load_dwordx2 s[2:3], s[0:1], 0x20
	s_load_dwordx2 s[10:11], s[0:1], 0x8
	v_mov_b64_e32 v[0:1], 0
	s_waitcnt lgkmcnt(0)
	; wave barrier
	s_waitcnt lgkmcnt(0)
                                        ; implicit-def: $vgpr6
                                        ; implicit-def: $vgpr20
                                        ; implicit-def: $vgpr10
                                        ; implicit-def: $vgpr30
                                        ; implicit-def: $vgpr26
                                        ; implicit-def: $vgpr34
	s_and_saveexec_b64 s[0:1], vcc
	s_cbranch_execz .LBB0_5
; %bb.4:
	ds_read2_b64 v[0:3], v47 offset1:28
	ds_read2_b64 v[24:27], v47 offset0:56 offset1:84
	ds_read2_b64 v[8:11], v47 offset0:112 offset1:140
	;; [unrolled: 1-line block ×4, first 2 shown]
	v_add_u32_e32 v12, 0x800, v47
	ds_read2_b64 v[30:33], v12 offset0:24 offset1:52
	ds_read_b64 v[34:35], v47 offset:2688
.LBB0_5:
	s_or_b64 exec, exec, s[0:1]
	s_waitcnt lgkmcnt(0)
	v_pk_add_f32 v[64:65], v[2:3], v[34:35] neg_lo:[0,1] neg_hi:[0,1]
	s_mov_b32 s16, 0xbf7e222b
	v_pk_add_f32 v[28:29], v[34:35], v[2:3]
	s_mov_b32 s0, 0x3df6dbef
	v_pk_mul_f32 v[12:13], v[64:65], s[16:17] op_sel_hi:[1,0]
	s_mov_b32 s18, 0xbf52af12
	v_pk_fma_f32 v[38:39], v[28:29], s[0:1], v[12:13] op_sel:[0,0,1] op_sel_hi:[1,0,0]
	v_pk_fma_f32 v[36:37], v[28:29], s[0:1], v[12:13] op_sel:[0,0,1] op_sel_hi:[1,0,0] neg_lo:[0,0,1] neg_hi:[0,0,1]
	v_pk_add_f32 v[68:69], v[24:25], v[32:33] neg_lo:[0,1] neg_hi:[0,1]
	s_mov_b32 s6, 0xbf6f5d39
	s_mov_b32 s14, 0x3f116cb1
	v_pk_mul_f32 v[12:13], v[64:65], s[18:19] op_sel_hi:[1,0]
	v_pk_add_f32 v[66:67], v[32:33], v[24:25]
	s_mov_b32 s4, 0xbeb58ec6
	v_pk_fma_f32 v[42:43], v[28:29], s[14:15], v[12:13] op_sel:[0,0,1] op_sel_hi:[1,0,0]
	v_pk_fma_f32 v[40:41], v[28:29], s[14:15], v[12:13] op_sel:[0,0,1] op_sel_hi:[1,0,0] neg_lo:[0,0,1] neg_hi:[0,0,1]
	v_pk_mul_f32 v[16:17], v[68:69], s[6:7] op_sel:[1,0] op_sel_hi:[0,0]
	v_mov_b32_e32 v12, v42
	v_mov_b32_e32 v13, v41
	v_pk_fma_f32 v[54:55], v[66:67], s[4:5], v[16:17] op_sel_hi:[1,0,1]
	v_pk_fma_f32 v[50:51], v[66:67], s[4:5], v[16:17] op_sel_hi:[1,0,1] neg_lo:[0,0,1] neg_hi:[0,0,1]
	v_pk_add_f32 v[12:13], v[12:13], v[0:1]
	v_mov_b32_e32 v16, v54
	v_mov_b32_e32 v17, v51
	s_mov_b32 s22, 0xbe750f2a
	v_pk_add_f32 v[12:13], v[16:17], v[12:13]
	s_mov_b32 s20, 0xbf788fa5
	v_pk_mul_f32 v[16:17], v[68:69], s[22:23] op_sel:[1,0] op_sel_hi:[0,0]
	v_mov_b32_e32 v14, v38
	v_mov_b32_e32 v15, v37
	v_pk_fma_f32 v[44:45], v[66:67], s[20:21], v[16:17] op_sel_hi:[1,0,1]
	v_pk_fma_f32 v[48:49], v[66:67], s[20:21], v[16:17] op_sel_hi:[1,0,1] neg_lo:[0,0,1] neg_hi:[0,0,1]
	v_pk_add_f32 v[14:15], v[14:15], v[0:1]
	v_mov_b32_e32 v16, v44
	v_mov_b32_e32 v17, v49
	v_pk_add_f32 v[146:147], v[26:27], v[30:31] neg_lo:[0,1] neg_hi:[0,1]
	v_pk_add_f32 v[74:75], v[30:31], v[26:27]
	v_pk_add_f32 v[14:15], v[16:17], v[14:15]
	v_pk_mul_f32 v[16:17], v[146:147], s[22:23] op_sel:[1,0] op_sel_hi:[0,0]
	v_pk_fma_f32 v[60:61], v[74:75], s[20:21], v[16:17] op_sel_hi:[1,0,1]
	v_pk_fma_f32 v[62:63], v[74:75], s[20:21], v[16:17] op_sel_hi:[1,0,1] neg_lo:[0,0,1] neg_hi:[0,0,1]
	v_mov_b32_e32 v16, v60
	v_mov_b32_e32 v17, v63
	s_mov_b32 s24, 0x3f6f5d39
	v_pk_add_f32 v[12:13], v[16:17], v[12:13]
	v_pk_mul_f32 v[16:17], v[146:147], s[24:25] op_sel:[1,0] op_sel_hi:[0,0]
	v_pk_fma_f32 v[56:57], v[74:75], s[4:5], v[16:17] op_sel_hi:[1,0,1]
	v_pk_fma_f32 v[58:59], v[74:75], s[4:5], v[16:17] op_sel_hi:[1,0,1] neg_lo:[0,0,1] neg_hi:[0,0,1]
	v_mov_b32_e32 v16, v56
	v_mov_b32_e32 v17, v59
	s_mov_b32 s36, 0x3f29c268
	v_pk_add_f32 v[148:149], v[8:9], v[22:23] neg_lo:[0,1] neg_hi:[0,1]
	v_pk_add_f32 v[14:15], v[16:17], v[14:15]
	s_mov_b32 s24, 0xbf3f9e67
	v_pk_add_f32 v[150:151], v[22:23], v[8:9]
	v_pk_mul_f32 v[16:17], v[148:149], s[36:37] op_sel:[1,0] op_sel_hi:[0,0]
	v_pk_fma_f32 v[76:77], v[150:151], s[24:25], v[16:17] op_sel_hi:[1,0,1]
	v_pk_fma_f32 v[78:79], v[150:151], s[24:25], v[16:17] op_sel_hi:[1,0,1] neg_lo:[0,0,1] neg_hi:[0,0,1]
	v_mov_b32_e32 v16, v76
	v_mov_b32_e32 v17, v79
	s_mov_b32 s30, 0x3eedf032
	v_pk_add_f32 v[12:13], v[16:17], v[12:13]
	s_mov_b32 s28, 0x3f62ad3f
	v_pk_mul_f32 v[16:17], v[148:149], s[30:31] op_sel:[1,0] op_sel_hi:[0,0]
	v_pk_fma_f32 v[70:71], v[150:151], s[28:29], v[16:17] op_sel_hi:[1,0,1]
	v_pk_fma_f32 v[72:73], v[150:151], s[28:29], v[16:17] op_sel_hi:[1,0,1] neg_lo:[0,0,1] neg_hi:[0,0,1]
	v_mov_b32_e32 v16, v70
	v_mov_b32_e32 v17, v73
	s_mov_b32 s26, 0x3f7e222b
	v_pk_add_f32 v[152:153], v[10:11], v[20:21] neg_lo:[0,1] neg_hi:[0,1]
	v_pk_add_f32 v[14:15], v[16:17], v[14:15]
	v_pk_add_f32 v[154:155], v[20:21], v[10:11]
	v_pk_mul_f32 v[16:17], v[152:153], s[26:27] op_sel:[1,0] op_sel_hi:[0,0]
	v_pk_fma_f32 v[84:85], v[154:155], s[0:1], v[16:17] op_sel_hi:[1,0,1]
	v_pk_fma_f32 v[86:87], v[154:155], s[0:1], v[16:17] op_sel_hi:[1,0,1] neg_lo:[0,0,1] neg_hi:[0,0,1]
	v_mov_b32_e32 v16, v84
	v_mov_b32_e32 v17, v87
	v_pk_add_f32 v[12:13], v[16:17], v[12:13]
	v_pk_mul_f32 v[16:17], v[152:153], s[18:19] op_sel:[1,0] op_sel_hi:[0,0]
	v_pk_fma_f32 v[80:81], v[154:155], s[14:15], v[16:17] op_sel_hi:[1,0,1]
	v_pk_fma_f32 v[82:83], v[154:155], s[14:15], v[16:17] op_sel_hi:[1,0,1] neg_lo:[0,0,1] neg_hi:[0,0,1]
	v_mov_b32_e32 v16, v80
	v_mov_b32_e32 v17, v83
	v_pk_add_f32 v[156:157], v[4:5], v[6:7] neg_lo:[0,1] neg_hi:[0,1]
	v_pk_add_f32 v[16:17], v[16:17], v[14:15]
	v_pk_add_f32 v[158:159], v[6:7], v[4:5]
	v_pk_mul_f32 v[14:15], v[156:157], s[30:31] op_sel:[1,0] op_sel_hi:[0,0]
	v_pk_fma_f32 v[102:103], v[158:159], s[28:29], v[14:15] op_sel_hi:[1,0,1]
	v_pk_fma_f32 v[104:105], v[158:159], s[28:29], v[14:15] op_sel_hi:[1,0,1] neg_lo:[0,0,1] neg_hi:[0,0,1]
	s_mov_b32 s34, 0xbf29c268
	v_mov_b32_e32 v14, v102
	v_mov_b32_e32 v15, v105
	v_pk_add_f32 v[14:15], v[14:15], v[12:13]
	v_pk_mul_f32 v[12:13], v[156:157], s[34:35] op_sel:[1,0] op_sel_hi:[0,0]
	v_pk_fma_f32 v[94:95], v[158:159], s[24:25], v[12:13] op_sel_hi:[1,0,1]
	v_pk_fma_f32 v[96:97], v[158:159], s[24:25], v[12:13] op_sel_hi:[1,0,1] neg_lo:[0,0,1] neg_hi:[0,0,1]
	v_mov_b32_e32 v12, v94
	v_mov_b32_e32 v13, v97
	v_pk_add_f32 v[12:13], v[12:13], v[16:17]
	v_pk_mul_f32 v[16:17], v[64:65], s[6:7] op_sel_hi:[1,0]
	s_mov_b32 s38, 0xbeedf032
	v_pk_fma_f32 v[130:131], v[28:29], s[4:5], v[16:17] op_sel:[0,0,1] op_sel_hi:[1,0,0]
	v_pk_fma_f32 v[92:93], v[28:29], s[4:5], v[16:17] op_sel:[0,0,1] op_sel_hi:[1,0,0] neg_lo:[0,0,1] neg_hi:[0,0,1]
	v_pk_mul_f32 v[16:17], v[68:69], s[36:37] op_sel:[1,0] op_sel_hi:[0,0]
	v_pk_fma_f32 v[132:133], v[66:67], s[24:25], v[16:17] op_sel_hi:[1,0,1]
	v_pk_fma_f32 v[98:99], v[66:67], s[24:25], v[16:17] op_sel_hi:[1,0,1] neg_lo:[0,0,1] neg_hi:[0,0,1]
	v_mov_b32_e32 v16, v130
	v_mov_b32_e32 v17, v93
	v_pk_add_f32 v[16:17], v[16:17], v[0:1]
	v_mov_b32_e32 v18, v132
	v_mov_b32_e32 v19, v99
	v_pk_add_f32 v[16:17], v[18:19], v[16:17]
	v_pk_mul_f32 v[18:19], v[68:69], s[26:27] op_sel:[1,0] op_sel_hi:[0,0]
	v_pk_fma_f32 v[138:139], v[66:67], s[0:1], v[18:19] op_sel_hi:[1,0,1]
	v_pk_fma_f32 v[88:89], v[66:67], s[0:1], v[18:19] op_sel_hi:[1,0,1] neg_lo:[0,0,1] neg_hi:[0,0,1]
	v_pk_mul_f32 v[18:19], v[64:65], s[34:35] op_sel_hi:[1,0]
	v_mov_b32_e32 v52, v138
	v_pk_fma_f32 v[140:141], v[28:29], s[24:25], v[18:19] op_sel:[0,0,1] op_sel_hi:[1,0,0]
	v_pk_fma_f32 v[90:91], v[28:29], s[24:25], v[18:19] op_sel:[0,0,1] op_sel_hi:[1,0,0] neg_lo:[0,0,1] neg_hi:[0,0,1]
	v_mov_b32_e32 v18, v140
	v_mov_b32_e32 v19, v91
	v_pk_add_f32 v[18:19], v[18:19], v[0:1]
	v_mov_b32_e32 v53, v89
	v_pk_add_f32 v[18:19], v[52:53], v[18:19]
	v_pk_mul_f32 v[52:53], v[146:147], s[30:31] op_sel:[1,0] op_sel_hi:[0,0]
	v_pk_fma_f32 v[106:107], v[74:75], s[28:29], v[52:53] op_sel_hi:[1,0,1]
	v_pk_fma_f32 v[108:109], v[74:75], s[28:29], v[52:53] op_sel_hi:[1,0,1] neg_lo:[0,0,1] neg_hi:[0,0,1]
	v_mov_b32_e32 v52, v106
	v_mov_b32_e32 v53, v109
	v_pk_add_f32 v[16:17], v[52:53], v[16:17]
	v_pk_mul_f32 v[52:53], v[146:147], s[18:19] op_sel:[1,0] op_sel_hi:[0,0]
	v_pk_fma_f32 v[144:145], v[74:75], s[14:15], v[52:53] op_sel_hi:[1,0,1]
	v_pk_fma_f32 v[100:101], v[74:75], s[14:15], v[52:53] op_sel_hi:[1,0,1] neg_lo:[0,0,1] neg_hi:[0,0,1]
	v_mov_b32_e32 v52, v144
	;; [unrolled: 6-line block ×3, first 2 shown]
	v_mov_b32_e32 v53, v117
	s_mov_b32 s36, 0x3e750f2a
	v_pk_add_f32 v[16:17], v[52:53], v[16:17]
	v_pk_mul_f32 v[52:53], v[148:149], s[36:37] op_sel:[1,0] op_sel_hi:[0,0]
	v_pk_fma_f32 v[110:111], v[150:151], s[20:21], v[52:53] op_sel_hi:[1,0,1]
	v_pk_fma_f32 v[112:113], v[150:151], s[20:21], v[52:53] op_sel_hi:[1,0,1] neg_lo:[0,0,1] neg_hi:[0,0,1]
	v_mov_b32_e32 v52, v110
	v_mov_b32_e32 v53, v113
	v_pk_add_f32 v[18:19], v[52:53], v[18:19]
	v_pk_mul_f32 v[52:53], v[152:153], s[36:37] op_sel:[1,0] op_sel_hi:[0,0]
	v_pk_fma_f32 v[122:123], v[154:155], s[20:21], v[52:53] op_sel_hi:[1,0,1]
	v_pk_fma_f32 v[124:125], v[154:155], s[20:21], v[52:53] op_sel_hi:[1,0,1] neg_lo:[0,0,1] neg_hi:[0,0,1]
	v_mov_b32_e32 v52, v122
	v_mov_b32_e32 v53, v125
	;; [unrolled: 6-line block ×3, first 2 shown]
	s_mov_b32 s36, 0x3f52af12
	v_pk_add_f32 v[52:53], v[52:53], v[18:19]
	v_pk_mul_f32 v[18:19], v[156:157], s[36:37] op_sel:[1,0] op_sel_hi:[0,0]
	v_pk_fma_f32 v[134:135], v[158:159], s[14:15], v[18:19] op_sel_hi:[1,0,1]
	v_pk_fma_f32 v[136:137], v[158:159], s[14:15], v[18:19] op_sel_hi:[1,0,1] neg_lo:[0,0,1] neg_hi:[0,0,1]
	v_mov_b32_e32 v18, v134
	v_mov_b32_e32 v19, v137
	v_pk_add_f32 v[18:19], v[18:19], v[16:17]
	v_pk_mul_f32 v[16:17], v[156:157], s[6:7] op_sel:[1,0] op_sel_hi:[0,0]
	v_pk_fma_f32 v[126:127], v[158:159], s[4:5], v[16:17] op_sel_hi:[1,0,1]
	v_pk_fma_f32 v[128:129], v[158:159], s[4:5], v[16:17] op_sel_hi:[1,0,1] neg_lo:[0,0,1] neg_hi:[0,0,1]
	v_mov_b32_e32 v16, v126
	v_mov_b32_e32 v17, v129
	v_pk_add_f32 v[16:17], v[16:17], v[52:53]
	v_pk_mul_f32 v[52:53], v[64:65], s[38:39] op_sel_hi:[1,0]
	v_pk_mul_f32 v[142:143], v[68:69], s[18:19] op_sel:[1,0] op_sel_hi:[0,0]
	v_pk_fma_f32 v[162:163], v[28:29], s[28:29], v[52:53] op_sel:[0,0,1] op_sel_hi:[1,0,0]
	v_pk_fma_f32 v[160:161], v[28:29], s[28:29], v[52:53] op_sel:[0,0,1] op_sel_hi:[1,0,0] neg_lo:[0,0,1] neg_hi:[0,0,1]
	v_mov_b32_e32 v52, v162
	v_mov_b32_e32 v53, v161
	v_pk_fma_f32 v[166:167], v[66:67], s[14:15], v[142:143] op_sel_hi:[1,0,1]
	v_pk_fma_f32 v[164:165], v[66:67], s[14:15], v[142:143] op_sel_hi:[1,0,1] neg_lo:[0,0,1] neg_hi:[0,0,1]
	v_pk_add_f32 v[52:53], v[52:53], v[0:1]
	v_mov_b32_e32 v142, v166
	v_mov_b32_e32 v143, v165
	v_pk_add_f32 v[52:53], v[142:143], v[52:53]
	v_pk_mul_f32 v[142:143], v[146:147], s[16:17] op_sel:[1,0] op_sel_hi:[0,0]
	v_pk_fma_f32 v[168:169], v[74:75], s[0:1], v[142:143] op_sel_hi:[1,0,1]
	v_pk_fma_f32 v[170:171], v[74:75], s[0:1], v[142:143] op_sel_hi:[1,0,1] neg_lo:[0,0,1] neg_hi:[0,0,1]
	v_mov_b32_e32 v142, v168
	v_mov_b32_e32 v143, v171
	v_pk_add_f32 v[52:53], v[142:143], v[52:53]
	v_pk_mul_f32 v[142:143], v[148:149], s[6:7] op_sel:[1,0] op_sel_hi:[0,0]
	v_pk_fma_f32 v[172:173], v[150:151], s[4:5], v[142:143] op_sel_hi:[1,0,1]
	v_pk_fma_f32 v[174:175], v[150:151], s[4:5], v[142:143] op_sel_hi:[1,0,1] neg_lo:[0,0,1] neg_hi:[0,0,1]
	;; [unrolled: 6-line block ×4, first 2 shown]
	v_mov_b32_e32 v142, v180
	v_mov_b32_e32 v143, v183
	v_pk_add_f32 v[52:53], v[142:143], v[52:53]
	v_pk_mul_f32 v[142:143], v[64:65], s[22:23] op_sel_hi:[1,0]
	v_mul_lo_u16_e32 v106, 13, v184
	v_pk_fma_f32 v[64:65], v[28:29], s[20:21], v[142:143] op_sel:[0,0,1] op_sel_hi:[1,0,0]
	v_pk_fma_f32 v[142:143], v[28:29], s[20:21], v[142:143] op_sel:[0,0,1] op_sel_hi:[1,0,0] neg_lo:[0,0,1] neg_hi:[0,0,1]
	v_pk_mul_f32 v[28:29], v[68:69], s[30:31] op_sel:[1,0] op_sel_hi:[0,0]
	v_pk_fma_f32 v[68:69], v[66:67], s[28:29], v[28:29] op_sel_hi:[1,0,1]
	v_pk_fma_f32 v[66:67], v[66:67], s[28:29], v[28:29] op_sel_hi:[1,0,1] neg_lo:[0,0,1] neg_hi:[0,0,1]
	v_pk_mul_f32 v[28:29], v[146:147], s[34:35] op_sel:[1,0] op_sel_hi:[0,0]
	v_pk_fma_f32 v[146:147], v[74:75], s[24:25], v[28:29] op_sel_hi:[1,0,1]
	v_pk_fma_f32 v[74:75], v[74:75], s[24:25], v[28:29] op_sel_hi:[1,0,1] neg_lo:[0,0,1] neg_hi:[0,0,1]
	;; [unrolled: 3-line block ×4, first 2 shown]
	v_mov_b32_e32 v28, v64
	v_mov_b32_e32 v29, v143
	;; [unrolled: 1-line block ×4, first 2 shown]
	v_pk_add_f32 v[28:29], v[28:29], v[0:1]
	s_nop 0
	v_pk_add_f32 v[28:29], v[186:187], v[28:29]
	v_mov_b32_e32 v186, v146
	v_mov_b32_e32 v187, v75
	v_pk_add_f32 v[28:29], v[186:187], v[28:29]
	v_mov_b32_e32 v186, v148
	v_mov_b32_e32 v187, v151
	;; [unrolled: 3-line block ×3, first 2 shown]
	v_pk_add_f32 v[28:29], v[186:187], v[28:29]
	v_pk_mul_f32 v[186:187], v[156:157], s[26:27] op_sel:[1,0] op_sel_hi:[0,0]
	v_pk_fma_f32 v[156:157], v[158:159], s[0:1], v[186:187] op_sel_hi:[1,0,1]
	v_pk_fma_f32 v[158:159], v[158:159], s[0:1], v[186:187] op_sel_hi:[1,0,1] neg_lo:[0,0,1] neg_hi:[0,0,1]
	v_mov_b32_e32 v186, v156
	v_mov_b32_e32 v187, v159
	v_pk_add_f32 v[28:29], v[186:187], v[28:29]
	; wave barrier
	s_and_saveexec_b64 s[0:1], vcc
	s_cbranch_execz .LBB0_7
; %bb.6:
	v_pk_add_f32 v[2:3], v[2:3], v[0:1]
	v_mov_b32_e32 v161, v163
	v_pk_add_f32 v[2:3], v[24:25], v[2:3]
	v_mov_b32_e32 v165, v167
	;; [unrolled: 2-line block ×5, first 2 shown]
	v_pk_add_f32 v[2:3], v[4:5], v[2:3]
	v_pk_add_f32 v[4:5], v[160:161], v[0:1]
	;; [unrolled: 1-line block ×11, first 2 shown]
	v_mov_b32_e32 v183, v181
	v_pk_add_f32 v[2:3], v[34:35], v[2:3]
	v_pk_add_f32 v[4:5], v[182:183], v[4:5]
	v_lshlrev_b32_e32 v6, 3, v106
	v_mov_b32_e32 v37, v39
	v_mov_b32_e32 v41, v43
	ds_write2_b64 v6, v[2:3], v[4:5] offset1:1
	v_mov_b32_e32 v51, v55
	v_pk_add_f32 v[2:3], v[40:41], v[0:1]
	v_pk_add_f32 v[4:5], v[36:37], v[0:1]
	v_mov_b32_e32 v49, v45
	v_pk_add_f32 v[2:3], v[50:51], v[2:3]
	v_mov_b32_e32 v63, v61
	;; [unrolled: 2-line block ×9, first 2 shown]
	v_mov_b32_e32 v91, v141
	v_mov_b32_e32 v93, v131
	v_pk_add_f32 v[2:3], v[104:105], v[2:3]
	v_pk_add_f32 v[4:5], v[96:97], v[4:5]
	v_mov_b32_e32 v143, v65
	v_mov_b32_e32 v89, v139
	;; [unrolled: 1-line block ×3, first 2 shown]
	ds_write2_b64 v6, v[2:3], v[4:5] offset0:2 offset1:3
	v_pk_add_f32 v[2:3], v[92:93], v[0:1]
	v_pk_add_f32 v[4:5], v[90:91], v[0:1]
	;; [unrolled: 1-line block ×3, first 2 shown]
	v_mov_b32_e32 v67, v69
	v_mov_b32_e32 v101, v145
	v_pk_add_f32 v[2:3], v[98:99], v[2:3]
	v_mov_b32_e32 v109, v107
	v_pk_add_f32 v[4:5], v[88:89], v[4:5]
	v_pk_add_f32 v[0:1], v[66:67], v[0:1]
	v_mov_b32_e32 v75, v147
	v_pk_add_f32 v[2:3], v[108:109], v[2:3]
	v_mov_b32_e32 v117, v115
	;; [unrolled: 2-line block ×10, first 2 shown]
	v_pk_add_f32 v[2:3], v[136:137], v[2:3]
	v_pk_add_f32 v[4:5], v[128:129], v[4:5]
	v_pk_add_f32 v[0:1], v[158:159], v[0:1]
	ds_write2_b64 v6, v[2:3], v[4:5] offset0:4 offset1:5
	ds_write2_b64 v6, v[0:1], v[28:29] offset0:6 offset1:7
	;; [unrolled: 1-line block ×4, first 2 shown]
	ds_write_b64 v6, v[52:53] offset:96
.LBB0_7:
	s_or_b64 exec, exec, s[0:1]
	s_movk_i32 s0, 0x4f
	v_mul_lo_u16_sdwa v0, v184, s0 dst_sel:DWORD dst_unused:UNUSED_PAD src0_sel:BYTE_0 src1_sel:DWORD
	v_lshrrev_b16_e32 v60, 10, v0
	v_mul_lo_u16_e32 v0, 13, v60
	v_sub_u16_e32 v0, v184, v0
	v_and_b32_e32 v61, 0xff, v0
	v_mul_u32_u24_e32 v0, 6, v61
	v_lshlrev_b32_e32 v20, 3, v0
	s_load_dwordx4 s[4:7], s[2:3], 0x0
	s_waitcnt lgkmcnt(0)
	; wave barrier
	s_waitcnt lgkmcnt(0)
	global_load_dwordx4 v[8:11], v20, s[10:11]
	global_load_dwordx4 v[4:7], v20, s[10:11] offset:16
	global_load_dwordx4 v[0:3], v20, s[10:11] offset:32
	v_add_u32_e32 v62, 0x400, v47
	ds_read2_b64 v[20:23], v47 offset1:52
	ds_read2_b64 v[24:27], v47 offset0:104 offset1:156
	ds_read_b64 v[34:35], v47 offset:2496
	ds_read2_b64 v[30:33], v62 offset0:80 offset1:132
	s_mov_b32 s0, 0x3eae86e6
	s_waitcnt lgkmcnt(3)
	v_mov_b32_e32 v37, v23
	s_waitcnt lgkmcnt(2)
	v_mov_b32_e32 v36, v25
	;; [unrolled: 2-line block ×4, first 2 shown]
	s_mov_b32 s1, 0x3f4a47b2
	s_mov_b32 s2, 0x3f3bfb3b
	;; [unrolled: 1-line block ×7, first 2 shown]
	s_waitcnt lgkmcnt(0)
	; wave barrier
	s_waitcnt vmcnt(2)
	v_mul_f32_e32 v40, v23, v9
	v_mul_f32_e32 v54, v25, v11
	s_waitcnt vmcnt(1)
	v_mul_f32_e32 v23, v26, v5
	s_waitcnt vmcnt(0)
	v_mul_f32_e32 v57, v33, v1
	v_mov_b32_e32 v25, v22
	v_mov_b32_e32 v44, v11
	;; [unrolled: 1-line block ×6, first 2 shown]
	v_mul_f32_e32 v55, v27, v5
	v_mul_f32_e32 v56, v31, v7
	v_mul_f32_e32 v41, v30, v7
	v_mul_f32_e32 v35, v35, v3
	v_mov_b32_e32 v42, v10
	v_mov_b32_e32 v43, v8
	;; [unrolled: 1-line block ×4, first 2 shown]
	v_fma_f32 v22, v22, v8, -v40
	v_fma_f32 v40, v24, v10, -v54
	v_fmac_f32_e32 v23, v27, v4
	v_fma_f32 v27, v32, v0, -v57
	v_pk_mul_f32 v[24:25], v[24:25], v[44:45]
	v_pk_mul_f32 v[32:33], v[32:33], v[50:51]
	v_fma_f32 v26, v26, v4, -v55
	v_fma_f32 v30, v30, v6, -v56
	v_fmac_f32_e32 v41, v31, v6
	v_fma_f32 v34, v34, v2, -v35
	v_add_f32_e32 v31, v40, v27
	v_pk_fma_f32 v[24:25], v[36:37], v[42:43], v[24:25]
	v_pk_fma_f32 v[32:33], v[38:39], v[48:49], v[32:33]
	v_sub_f32_e32 v44, v40, v27
	v_pk_add_f32 v[36:37], v[22:23], v[34:35] op_sel_hi:[0,0] neg_lo:[0,1] neg_hi:[0,1]
	v_pk_add_f32 v[34:35], v[22:23], v[34:35] op_sel_hi:[0,0]
	v_pk_add_f32 v[38:39], v[30:31], v[26:27] op_sel_hi:[0,0] neg_lo:[0,1] neg_hi:[0,1]
	v_pk_add_f32 v[26:27], v[30:31], v[26:27] op_sel_hi:[0,0]
	v_mov_b32_e32 v40, v25
	v_mov_b32_e32 v22, v33
	;; [unrolled: 1-line block ×3, first 2 shown]
	v_pk_add_f32 v[42:43], v[24:25], v[32:33]
	v_pk_add_f32 v[48:49], v[24:25], v[32:33] neg_lo:[0,1] neg_hi:[0,1]
	v_mov_b32_e32 v39, v27
	v_add_f32_e32 v24, v31, v35
	v_sub_f32_e32 v25, v31, v35
	v_add_f32_e32 v35, v38, v44
	v_pk_add_f32 v[32:33], v[40:41], v[22:23]
	v_mov_b32_e32 v30, v23
	v_mov_b32_e32 v34, v41
	v_sub_f32_e32 v26, v27, v31
	v_pk_add_f32 v[22:23], v[40:41], v[22:23] neg_lo:[0,1] neg_hi:[0,1]
	v_mov_b32_e32 v31, v42
	v_pk_add_f32 v[40:41], v[36:37], v[38:39] neg_lo:[0,1] neg_hi:[0,1]
	v_add_f32_e32 v37, v35, v36
	v_mov_b32_e32 v35, v32
	v_pk_add_f32 v[34:35], v[30:31], v[34:35]
	v_sub_f32_e32 v45, v44, v36
	v_mul_f32_e32 v22, 0x3f3bfb3b, v25
	v_mov_b32_e32 v33, v23
	v_mov_b32_e32 v36, v23
	v_sub_f32_e32 v25, v23, v48
	v_sub_f32_e32 v23, v32, v34
	v_mov_b32_e32 v43, v49
	v_mul_f32_e32 v50, 0x3ee1c552, v37
	v_pk_add_f32 v[36:37], v[36:37], v[48:49]
	v_mul_f32_e32 v57, 0x3f4a47b2, v23
	v_mov_b32_e32 v23, v48
	v_pk_add_f32 v[42:43], v[42:43], v[32:33] neg_lo:[0,1] neg_hi:[0,1]
	v_pk_add_f32 v[36:37], v[36:37], v[48:49] op_sel:[0,1]
	v_pk_add_f32 v[48:49], v[22:23], v[48:49] neg_lo:[0,1] neg_hi:[0,1]
	v_pk_mul_f32 v[54:55], v[40:41], s[0:1]
	v_pk_mul_f32 v[32:33], v[42:43], s[2:3]
	v_mul_f32_e32 v59, 0xbf08b237, v25
	v_mul_f32_e32 v30, 0x3f5ff5aa, v45
	v_mov_b32_e32 v37, v49
	v_xor_b32_e32 v58, 0x80000000, v57
	v_mov_b32_e32 v39, v34
	v_mov_b32_e32 v45, v31
	v_pk_mul_f32 v[36:37], v[36:37], s[14:15]
	v_pk_fma_f32 v[48:49], v[42:43], s[2:3], v[58:59] neg_lo:[1,0,0] neg_hi:[1,0,0]
	v_pk_fma_f32 v[42:43], v[42:43], s[2:3], v[58:59]
	v_pk_add_f32 v[38:39], v[38:39], v[44:45] neg_lo:[0,1] neg_hi:[0,1]
	v_mov_b32_e32 v56, v54
	v_mov_b32_e32 v31, v32
	v_fmamk_f32 v23, v25, 0x3f08b237, v37
	v_xor_b32_e32 v42, 0x80000000, v30
	v_pk_fma_f32 v[44:45], v[38:39], s[16:17], v[56:57]
	v_pk_fma_f32 v[30:31], v[38:39], s[16:17], v[30:31] neg_lo:[1,0,0] neg_hi:[1,0,0]
	v_mov_b32_e32 v38, v55
	v_mov_b32_e32 v54, v27
	;; [unrolled: 1-line block ×4, first 2 shown]
	v_pk_add_f32 v[24:25], v[54:55], v[24:25]
	v_add_f32_e32 v32, v36, v23
	v_mov_b32_e32 v39, v37
	v_mov_b32_e32 v23, v33
	v_mov_b32_e32 v27, v24
	s_mov_b32 s3, 0x3f955555
	s_mov_b32 s2, s17
	v_pk_add_f32 v[38:39], v[38:39], v[22:23] neg_lo:[1,1] neg_hi:[1,1]
	v_mul_u32_u24_e32 v23, 0x5b, v60
	v_pk_add_f32 v[54:55], v[20:21], v[24:25]
	v_pk_mul_f32 v[20:21], v[26:27], s[2:3]
	v_mov_b32_e32 v49, v43
	v_add_lshl_u32 v126, v23, v61, 3
	v_mov_b32_e32 v43, v20
	v_mov_b32_e32 v23, v54
	v_pk_fma_f32 v[20:21], v[40:41], s[0:1], v[42:43] neg_lo:[1,0,0] neg_hi:[1,0,0]
	v_pk_fma_f32 v[34:35], v[40:41], s[0:1], v[42:43]
	v_pk_fma_f32 v[22:23], v[26:27], s[2:3], v[22:23] neg_lo:[1,0,0] neg_hi:[1,0,0]
	v_fmamk_f32 v51, v25, 0xbf955555, v55
	v_mov_b32_e32 v21, v35
	v_pk_add_f32 v[26:27], v[50:51], v[44:45]
	v_mov_b32_e32 v34, v51
	v_mov_b32_e32 v35, v36
	v_pk_add_f32 v[42:43], v[30:31], v[50:51]
	v_mov_b32_e32 v51, v23
	v_mov_b32_e32 v24, v23
	v_pk_add_f32 v[40:41], v[48:49], v[34:35]
	v_pk_add_f32 v[48:49], v[50:51], v[20:21]
	v_mov_b32_e32 v20, v23
	v_mov_b32_e32 v21, v36
	v_pk_add_f32 v[24:25], v[22:23], v[24:25]
	v_pk_add_f32 v[22:23], v[38:39], v[20:21]
	v_mov_b32_e32 v36, v49
	v_mov_b32_e32 v20, v23
	v_pk_add_f32 v[34:35], v[22:23], v[20:21] neg_lo:[0,1] neg_hi:[0,1]
	v_pk_add_f32 v[20:21], v[48:49], v[40:41] neg_lo:[0,1] neg_hi:[0,1]
	v_mov_b32_e32 v37, v26
	v_mov_b32_e32 v20, v27
	v_pk_add_f32 v[44:45], v[26:27], v[20:21]
	v_mov_b32_e32 v20, v41
	v_pk_add_f32 v[38:39], v[20:21], v[36:37]
	v_pk_add_f32 v[26:27], v[26:27], v[36:37] neg_lo:[0,1] neg_hi:[0,1]
	v_mov_b32_e32 v36, v22
	v_mov_b32_e32 v39, v27
	;; [unrolled: 1-line block ×5, first 2 shown]
	v_pk_add_f32 v[22:23], v[26:27], v[22:23]
	v_pk_add_f32 v[26:27], v[26:27], v[36:37] neg_lo:[0,1] neg_hi:[0,1]
	v_mov_b32_e32 v36, v24
	v_mov_b32_e32 v37, v42
	;; [unrolled: 1-line block ×3, first 2 shown]
	v_pk_add_f32 v[24:25], v[24:25], v[32:33] neg_lo:[0,1] neg_hi:[0,1]
	v_pk_add_f32 v[32:33], v[36:37], v[32:33]
	v_mov_b32_e32 v23, v27
	v_mov_b32_e32 v27, v42
	;; [unrolled: 1-line block ×3, first 2 shown]
	v_pk_add_f32 v[30:31], v[48:49], v[40:41]
	ds_write2_b64 v126, v[22:23], v[24:25] offset0:26 offset1:39
	v_pk_add_f32 v[22:23], v[42:43], v[26:27] neg_lo:[0,1] neg_hi:[0,1]
	v_mov_b32_e32 v35, v30
	v_mov_b32_e32 v33, v23
	;; [unrolled: 1-line block ×4, first 2 shown]
	ds_write2_b64 v126, v[54:55], v[38:39] offset1:13
	ds_write2_b64 v126, v[32:33], v[34:35] offset0:52 offset1:65
	ds_write_b64 v126, v[22:23] offset:624
	s_waitcnt lgkmcnt(0)
	; wave barrier
	s_waitcnt lgkmcnt(0)
	ds_read2_b64 v[36:39], v47 offset1:91
	ds_read2_b64 v[40:43], v62 offset0:54 offset1:145
	v_cmp_gt_u16_e64 s[0:1], 39, v184
	v_cmp_lt_u16_e64 s[2:3], 38, v184
	s_and_saveexec_b64 s[14:15], s[2:3]
	s_xor_b64 s[14:15], exec, s[14:15]
; %bb.8:
	v_mov_b32_e32 v31, v21
; %bb.9:
	s_andn2_saveexec_b64 s[14:15], s[14:15]
	s_cbranch_execz .LBB0_11
; %bb.10:
	v_add_u32_e32 v20, 0x400, v47
	ds_read2_b64 v[32:35], v47 offset0:52 offset1:143
	ds_read2_b64 v[26:29], v20 offset0:106 offset1:197
	s_waitcnt lgkmcnt(1)
	v_mov_b32_e32 v30, v35
	s_waitcnt lgkmcnt(0)
	v_mov_b32_e32 v31, v26
	v_mov_b32_e32 v44, v27
.LBB0_11:
	s_or_b64 exec, exec, s[14:15]
	v_mad_u64_u32 v[20:21], s[14:15], v184, 24, s[10:11]
	global_load_dwordx4 v[24:27], v[20:21], off offset:624
	global_load_dwordx2 v[50:51], v[20:21], off offset:640
	v_add_u32_e32 v20, 52, v184
	v_subrev_u32_e32 v21, 39, v184
	v_cndmask_b32_e64 v20, v21, v20, s[0:1]
	v_mul_hi_i32_i24_e32 v21, 24, v20
	v_mul_i32_i24_e32 v20, 24, v20
	v_lshl_add_u64 v[54:55], s[10:11], 0, v[20:21]
	global_load_dwordx4 v[20:23], v[54:55], off offset:624
	global_load_dwordx2 v[48:49], v[54:55], off offset:640
	v_add_u32_e32 v54, 0x400, v47
	s_waitcnt vmcnt(3)
	v_mov_b32_e32 v56, v25
	s_waitcnt lgkmcnt(1)
	v_pk_mul_f32 v[58:59], v[38:39], v[24:25] op_sel:[1,0] op_sel_hi:[0,1]
	v_mov_b32_e32 v60, v27
	s_waitcnt lgkmcnt(0)
	v_pk_mul_f32 v[62:63], v[40:41], v[26:27] op_sel:[1,0] op_sel_hi:[0,1]
	s_waitcnt vmcnt(2)
	v_mov_b32_e32 v64, v51
	v_pk_mul_f32 v[66:67], v[42:43], v[50:51] op_sel:[1,0] op_sel_hi:[0,1]
	v_pk_mul_f32 v[56:57], v[38:39], v[56:57] op_sel:[1,0] op_sel_hi:[0,1]
	v_mov_b32_e32 v35, v58
	v_pk_mul_f32 v[58:59], v[40:41], v[60:61] op_sel:[1,0] op_sel_hi:[0,1]
	v_mov_b32_e32 v45, v62
	;; [unrolled: 2-line block ×3, first 2 shown]
	v_pk_fma_f32 v[56:57], v[38:39], v[24:25], v[56:57] neg_lo:[0,0,1] neg_hi:[0,0,1]
	v_pk_fma_f32 v[38:39], v[38:39], v[24:25], v[34:35] op_sel:[1,0,0] op_sel_hi:[0,1,1]
	v_pk_fma_f32 v[58:59], v[40:41], v[26:27], v[58:59] neg_lo:[0,0,1] neg_hi:[0,0,1]
	v_pk_fma_f32 v[40:41], v[40:41], v[26:27], v[44:45] op_sel:[1,0,0] op_sel_hi:[0,1,1]
	;; [unrolled: 2-line block ×3, first 2 shown]
	v_mov_b32_e32 v59, v41
	v_mov_b32_e32 v57, v39
	;; [unrolled: 1-line block ×3, first 2 shown]
	s_waitcnt vmcnt(1)
	v_pk_mul_f32 v[34:35], v[34:35], v[20:21] op_sel_hi:[0,1]
	v_pk_mul_f32 v[38:39], v[44:45], v[22:23] op_sel_hi:[0,1]
	s_waitcnt vmcnt(0)
	v_pk_mul_f32 v[40:41], v[28:29], v[48:49] op_sel_hi:[0,1]
	v_pk_add_f32 v[42:43], v[36:37], v[58:59] neg_lo:[0,1] neg_hi:[0,1]
	v_pk_add_f32 v[44:45], v[56:57], v[60:61] neg_lo:[0,1] neg_hi:[0,1]
	v_pk_fma_f32 v[58:59], v[30:31], v[20:21], v[34:35] op_sel:[0,0,1] op_sel_hi:[1,1,0]
	v_pk_fma_f32 v[34:35], v[30:31], v[20:21], v[34:35] op_sel:[0,0,1] op_sel_hi:[0,1,0] neg_lo:[1,0,0] neg_hi:[1,0,0]
	v_pk_fma_f32 v[60:61], v[30:31], v[22:23], v[38:39] op_sel:[1,0,1] op_sel_hi:[1,1,0] neg_lo:[0,0,1] neg_hi:[0,0,1]
	v_pk_fma_f32 v[30:31], v[30:31], v[22:23], v[38:39] op_sel:[1,0,1] op_sel_hi:[1,1,0]
	v_pk_fma_f32 v[38:39], v[28:29], v[48:49], v[40:41] op_sel:[1,0,1] op_sel_hi:[1,1,0]
	v_pk_fma_f32 v[28:29], v[28:29], v[48:49], v[40:41] op_sel:[1,0,1] op_sel_hi:[1,1,0] neg_lo:[1,0,0] neg_hi:[1,0,0]
	v_pk_fma_f32 v[40:41], v[36:37], 2.0, v[42:43] op_sel_hi:[1,0,1] neg_lo:[0,0,1] neg_hi:[0,0,1]
	v_pk_fma_f32 v[56:57], v[56:57], 2.0, v[44:45] op_sel_hi:[1,0,1] neg_lo:[0,0,1] neg_hi:[0,0,1]
	v_pk_add_f32 v[36:37], v[42:43], v[44:45] op_sel:[0,1] op_sel_hi:[1,0] neg_lo:[0,1] neg_hi:[0,1]
	v_pk_add_f32 v[44:45], v[42:43], v[44:45] op_sel:[0,1] op_sel_hi:[1,0]
	v_mov_b32_e32 v59, v35
	v_mov_b32_e32 v61, v31
	;; [unrolled: 1-line block ×3, first 2 shown]
	v_pk_add_f32 v[34:35], v[40:41], v[56:57] neg_lo:[0,1] neg_hi:[0,1]
	v_mov_b32_e32 v37, v45
	v_pk_add_f32 v[44:45], v[32:33], v[60:61] neg_lo:[0,1] neg_hi:[0,1]
	v_pk_add_f32 v[38:39], v[58:59], v[38:39] neg_lo:[0,1] neg_hi:[0,1]
	v_pk_fma_f32 v[28:29], v[40:41], 2.0, v[34:35] op_sel_hi:[1,0,1] neg_lo:[0,0,1] neg_hi:[0,0,1]
	v_pk_fma_f32 v[30:31], v[42:43], 2.0, v[36:37] op_sel_hi:[1,0,1] neg_lo:[0,0,1] neg_hi:[0,0,1]
	;; [unrolled: 1-line block ×4, first 2 shown]
	v_pk_add_f32 v[40:41], v[44:45], v[38:39] neg_lo:[0,1] neg_hi:[0,1]
	v_pk_add_f32 v[56:57], v[44:45], v[38:39]
	v_pk_add_f32 v[38:39], v[32:33], v[42:43] op_sel:[0,1] op_sel_hi:[1,0] neg_lo:[0,1] neg_hi:[0,1]
	v_mov_b32_e32 v41, v57
	v_pk_fma_f32 v[42:43], v[32:33], 2.0, v[38:39] op_sel_hi:[1,0,1] neg_lo:[0,0,1] neg_hi:[0,0,1]
	v_pk_fma_f32 v[44:45], v[44:45], 2.0, v[40:41] op_sel_hi:[1,0,1] neg_lo:[0,0,1] neg_hi:[0,0,1]
	ds_write2_b64 v47, v[28:29], v[30:31] offset1:91
	ds_write2_b64 v54, v[34:35], v[36:37] offset0:54 offset1:145
	s_and_saveexec_b64 s[10:11], s[0:1]
	s_cbranch_execz .LBB0_13
; %bb.12:
	ds_write2_b64 v47, v[42:43], v[44:45] offset0:52 offset1:143
	ds_write2_b64 v54, v[38:39], v[40:41] offset0:106 offset1:197
.LBB0_13:
	s_or_b64 exec, exec, s[10:11]
	s_waitcnt lgkmcnt(0)
	; wave barrier
	s_waitcnt lgkmcnt(0)
	s_and_saveexec_b64 s[10:11], vcc
	s_cbranch_execz .LBB0_15
; %bb.14:
	global_load_dwordx2 v[32:33], v47, s[8:9] offset:2912
	s_add_u32 s14, s8, 0xb60
	s_addc_u32 s15, s9, 0
	global_load_dwordx2 v[78:79], v47, s[14:15] offset:224
	global_load_dwordx2 v[80:81], v47, s[14:15] offset:448
	;; [unrolled: 1-line block ×12, first 2 shown]
	ds_read_b64 v[54:55], v47
	v_add_u32_e32 v102, 0x400, v47
	v_add_u32_e32 v103, 0x800, v47
	s_waitcnt vmcnt(12) lgkmcnt(0)
	v_mul_f32_e32 v56, v55, v33
	v_mul_f32_e32 v57, v54, v33
	v_fma_f32 v56, v54, v32, -v56
	v_fmac_f32_e32 v57, v55, v32
	ds_write_b64 v47, v[56:57]
	ds_read2_b64 v[54:57], v47 offset0:28 offset1:56
	ds_read2_b64 v[58:61], v47 offset0:84 offset1:112
	;; [unrolled: 1-line block ×6, first 2 shown]
	s_waitcnt vmcnt(11) lgkmcnt(5)
	v_mul_f32_e32 v32, v55, v79
	v_mul_f32_e32 v33, v54, v79
	s_waitcnt vmcnt(10)
	v_mul_f32_e32 v104, v57, v81
	v_mul_f32_e32 v79, v56, v81
	s_waitcnt vmcnt(9) lgkmcnt(4)
	v_mul_f32_e32 v105, v59, v83
	v_mul_f32_e32 v81, v58, v83
	s_waitcnt vmcnt(8)
	v_mul_f32_e32 v107, v61, v85
	v_mul_f32_e32 v83, v60, v85
	;; [unrolled: 6-line block ×6, first 2 shown]
	v_fma_f32 v32, v54, v78, -v32
	v_fmac_f32_e32 v33, v55, v78
	v_fma_f32 v78, v56, v80, -v104
	v_fmac_f32_e32 v79, v57, v80
	v_fma_f32 v80, v58, v82, -v105
	v_fmac_f32_e32 v81, v59, v82
	v_fma_f32 v82, v60, v84, -v107
	v_fmac_f32_e32 v83, v61, v84
	v_fma_f32 v84, v62, v86, -v108
	v_fmac_f32_e32 v85, v63, v86
	v_fma_f32 v86, v64, v88, -v109
	v_fmac_f32_e32 v87, v65, v88
	v_fma_f32 v88, v66, v90, -v110
	v_fmac_f32_e32 v89, v67, v90
	v_fma_f32 v90, v68, v92, -v111
	v_fmac_f32_e32 v91, v69, v92
	v_fma_f32 v92, v70, v94, -v112
	v_fmac_f32_e32 v93, v71, v94
	v_fma_f32 v94, v72, v96, -v113
	v_fmac_f32_e32 v95, v73, v96
	v_fma_f32 v96, v74, v98, -v114
	v_fmac_f32_e32 v97, v75, v98
	v_fma_f32 v98, v76, v100, -v115
	v_fmac_f32_e32 v99, v77, v100
	ds_write2_b64 v47, v[32:33], v[78:79] offset0:28 offset1:56
	ds_write2_b64 v47, v[80:81], v[82:83] offset0:84 offset1:112
	;; [unrolled: 1-line block ×6, first 2 shown]
.LBB0_15:
	s_or_b64 exec, exec, s[10:11]
	s_waitcnt lgkmcnt(0)
	; wave barrier
	s_waitcnt lgkmcnt(0)
	s_and_saveexec_b64 s[10:11], vcc
	s_cbranch_execz .LBB0_17
; %bb.16:
	ds_read2_b64 v[28:31], v47 offset1:28
	ds_read2_b64 v[34:37], v47 offset0:56 offset1:84
	ds_read2_b64 v[42:45], v47 offset0:112 offset1:140
	;; [unrolled: 1-line block ×4, first 2 shown]
	v_add_u32_e32 v12, 0x800, v47
	ds_read2_b64 v[12:15], v12 offset0:24 offset1:52
	ds_read_b64 v[52:53], v47 offset:2688
.LBB0_17:
	s_or_b64 exec, exec, s[10:11]
	s_waitcnt lgkmcnt(0)
	v_pk_add_f32 v[32:33], v[30:31], v[52:53] neg_lo:[0,1] neg_hi:[0,1]
	v_pk_add_f32 v[80:81], v[30:31], v[52:53]
	v_mov_b32_e32 v55, v32
	v_mov_b32_e32 v54, v80
	v_mov_b32_e32 v80, v33
	v_pk_add_f32 v[32:33], v[34:35], v[14:15] neg_lo:[0,1] neg_hi:[0,1]
	v_pk_add_f32 v[78:79], v[34:35], v[14:15]
	v_mov_b32_e32 v57, v32
	v_mov_b32_e32 v56, v78
	v_mov_b32_e32 v78, v33
	;; [unrolled: 5-line block ×4, first 2 shown]
	v_pk_add_f32 v[32:33], v[44:45], v[16:17] neg_lo:[0,1] neg_hi:[0,1]
	v_pk_add_f32 v[72:73], v[44:45], v[16:17]
	s_mov_b32 s35, 0xbf788fa5
	s_mov_b32 s34, 0xbe750f2a
	s_mov_b32 s36, 0x3eedf032
	v_mov_b32_e32 v62, v72
	v_mov_b32_e32 v63, v32
	;; [unrolled: 1-line block ×3, first 2 shown]
	v_pk_add_f32 v[32:33], v[38:39], v[40:41] neg_lo:[0,1] neg_hi:[0,1]
	v_pk_add_f32 v[70:71], v[38:39], v[40:41]
	v_pk_mul_f32 v[68:69], v[80:81], s[34:35]
	s_mov_b32 s10, s35
	s_mov_b32 s11, s34
	;; [unrolled: 1-line block ×3, first 2 shown]
	v_mov_b32_e32 v64, v70
	v_mov_b32_e32 v65, v32
	;; [unrolled: 1-line block ×3, first 2 shown]
	v_pk_fma_f32 v[32:33], v[54:55], s[10:11], v[68:69] neg_lo:[0,0,1] neg_hi:[0,0,1]
	v_pk_fma_f32 v[66:67], v[54:55], s[10:11], v[68:69]
	v_pk_mul_f32 v[82:83], v[78:79], s[36:37]
	s_mov_b32 s16, s37
	s_mov_b32 s17, s36
	v_mov_b32_e32 v33, v67
	v_pk_fma_f32 v[86:87], v[56:57], s[16:17], v[82:83] neg_lo:[0,0,1] neg_hi:[0,0,1]
	v_pk_fma_f32 v[84:85], v[56:57], s[16:17], v[82:83]
	s_mov_b32 s42, 0xbf29c268
	v_pk_add_f32 v[32:33], v[28:29], v[32:33]
	v_mov_b32_e32 v87, v85
	s_mov_b32 s43, 0xbf3f9e67
	v_pk_add_f32 v[32:33], v[86:87], v[32:33]
	v_pk_mul_f32 v[86:87], v[76:77], s[42:43]
	s_mov_b32 s14, s43
	s_mov_b32 s15, s42
	v_pk_fma_f32 v[90:91], v[58:59], s[14:15], v[86:87] neg_lo:[0,0,1] neg_hi:[0,0,1]
	v_pk_fma_f32 v[88:89], v[58:59], s[14:15], v[86:87]
	s_mov_b32 s44, 0x3f52af12
	v_mov_b32_e32 v91, v89
	s_mov_b32 s45, 0x3f116cb1
	v_pk_add_f32 v[32:33], v[90:91], v[32:33]
	v_pk_mul_f32 v[90:91], v[74:75], s[44:45]
	s_mov_b32 s26, s45
	s_mov_b32 s27, s44
	v_pk_fma_f32 v[94:95], v[60:61], s[26:27], v[90:91] neg_lo:[0,0,1] neg_hi:[0,0,1]
	v_pk_fma_f32 v[92:93], v[60:61], s[26:27], v[90:91]
	s_mov_b32 s40, 0xbf6f5d39
	v_mov_b32_e32 v95, v93
	s_mov_b32 s41, 0xbeb58ec6
	v_pk_add_f32 v[32:33], v[94:95], v[32:33]
	v_pk_mul_f32 v[94:95], v[72:73], s[40:41]
	s_mov_b32 s18, s41
	s_mov_b32 s19, s40
	;; [unrolled: 1-line block ×3, first 2 shown]
	v_pk_fma_f32 v[98:99], v[62:63], s[18:19], v[94:95] neg_lo:[0,0,1] neg_hi:[0,0,1]
	v_pk_fma_f32 v[96:97], v[62:63], s[18:19], v[94:95]
	s_mov_b32 s47, 0x3df6dbef
	v_mov_b32_e32 v99, v97
	v_pk_mul_f32 v[102:103], v[70:71], s[46:47]
	s_mov_b32 s22, s47
	s_mov_b32 s23, s46
	v_pk_add_f32 v[32:33], v[98:99], v[32:33]
	v_pk_fma_f32 v[98:99], v[64:65], s[22:23], v[102:103] neg_lo:[0,0,1] neg_hi:[0,0,1]
	v_pk_fma_f32 v[108:109], v[64:65], s[22:23], v[102:103]
	s_nop 0
	v_mov_b32_e32 v99, v109
	v_pk_add_f32 v[32:33], v[98:99], v[32:33]
	; wave barrier
	s_and_saveexec_b64 s[20:21], vcc
	s_cbranch_execz .LBB0_19
; %bb.18:
	v_pk_add_f32 v[30:31], v[30:31], v[28:29]
	s_mov_b32 s25, 0xbeedf032
	v_pk_add_f32 v[30:31], v[34:35], v[30:31]
	s_mov_b32 s28, s25
	;; [unrolled: 2-line block ×9, first 2 shown]
	v_pk_add_f32 v[12:13], v[12:13], v[16:17]
	v_lshlrev_b32_e32 v127, 3, v106
	v_pk_add_f32 v[12:13], v[14:15], v[12:13]
	v_pk_mul_f32 v[14:15], v[80:81], s[28:29]
	s_mov_b32 s29, 0xbf52af12
	v_pk_add_f32 v[98:99], v[52:53], v[12:13]
	v_pk_fma_f32 v[12:13], v[54:55], s[24:25], v[14:15]
	v_pk_fma_f32 v[16:17], v[54:55], s[24:25], v[14:15] neg_lo:[1,0,0] neg_hi:[1,0,0]
	s_mov_b32 s50, s29
	v_mov_b32_e32 v16, v12
	s_mov_b32 s28, s45
	v_pk_mul_f32 v[18:19], v[78:79], s[50:51]
	v_pk_add_f32 v[30:31], v[28:29], v[16:17]
	v_pk_fma_f32 v[16:17], v[56:57], s[28:29], v[18:19]
	v_pk_fma_f32 v[34:35], v[56:57], s[28:29], v[18:19] neg_lo:[1,0,0] neg_hi:[1,0,0]
	v_pk_mul_f32 v[106:107], v[78:79], s[40:41]
	v_mov_b32_e32 v34, v16
	v_pk_add_f32 v[36:37], v[34:35], v[30:31]
	v_pk_mul_f32 v[34:35], v[76:77], s[52:53]
	v_pk_fma_f32 v[112:113], v[56:57], s[18:19], v[106:107] neg_lo:[1,0,0] neg_hi:[1,0,0]
	v_pk_fma_f32 v[30:31], v[58:59], s[30:31], v[34:35]
	v_pk_fma_f32 v[38:39], v[58:59], s[30:31], v[34:35] neg_lo:[1,0,0] neg_hi:[1,0,0]
	s_mov_b32 s39, 0x3f29c268
	v_mov_b32_e32 v38, v30
	v_pk_add_f32 v[40:41], v[38:39], v[36:37]
	v_pk_mul_f32 v[38:39], v[74:75], s[40:41]
	s_mov_b32 s54, s39
	v_pk_fma_f32 v[36:37], v[60:61], s[18:19], v[38:39]
	v_pk_fma_f32 v[42:43], v[60:61], s[18:19], v[38:39] neg_lo:[1,0,0] neg_hi:[1,0,0]
	s_mov_b32 s55, s43
	v_mov_b32_e32 v42, v36
	v_pk_add_f32 v[44:45], v[42:43], v[40:41]
	v_pk_mul_f32 v[42:43], v[72:73], s[42:43]
	s_mov_b32 s38, s43
	v_pk_fma_f32 v[40:41], v[62:63], s[14:15], v[42:43]
	v_pk_fma_f32 v[52:53], v[62:63], s[14:15], v[42:43] neg_lo:[1,0,0] neg_hi:[1,0,0]
	v_pk_mul_f32 v[136:137], v[78:79], s[34:35]
	v_mov_b32_e32 v52, v40
	v_pk_add_f32 v[100:101], v[52:53], v[44:45]
	v_pk_mul_f32 v[52:53], v[70:71], s[34:35]
	v_pk_fma_f32 v[138:139], v[56:57], s[10:11], v[136:137]
	v_pk_fma_f32 v[44:45], v[64:65], s[10:11], v[52:53]
	v_pk_fma_f32 v[104:105], v[64:65], s[10:11], v[52:53] neg_lo:[1,0,0] neg_hi:[1,0,0]
	v_pk_fma_f32 v[140:141], v[56:57], s[10:11], v[136:137] neg_lo:[1,0,0] neg_hi:[1,0,0]
	v_mov_b32_e32 v104, v44
	v_pk_add_f32 v[100:101], v[104:105], v[100:101]
	ds_write2_b64 v127, v[98:99], v[100:101] offset1:1
	v_pk_mul_f32 v[100:101], v[80:81], s[50:51]
	s_mov_b32 s49, 0x3f6f5d39
	v_pk_fma_f32 v[98:99], v[54:55], s[28:29], v[100:101]
	v_pk_fma_f32 v[104:105], v[54:55], s[28:29], v[100:101] neg_lo:[1,0,0] neg_hi:[1,0,0]
	v_mov_b32_e32 v140, v138
	v_mov_b32_e32 v104, v98
	v_pk_add_f32 v[110:111], v[28:29], v[104:105]
	v_pk_fma_f32 v[104:105], v[56:57], s[18:19], v[106:107]
	s_mov_b32 s56, s49
	v_mov_b32_e32 v112, v104
	v_pk_add_f32 v[114:115], v[112:113], v[110:111]
	v_pk_mul_f32 v[112:113], v[76:77], s[34:35]
	s_mov_b32 s57, s41
	v_pk_fma_f32 v[110:111], v[58:59], s[10:11], v[112:113]
	v_pk_fma_f32 v[116:117], v[58:59], s[10:11], v[112:113] neg_lo:[1,0,0] neg_hi:[1,0,0]
	s_mov_b32 s48, s41
	v_mov_b32_e32 v116, v110
	v_pk_add_f32 v[118:119], v[116:117], v[114:115]
	v_pk_mul_f32 v[116:117], v[74:75], s[54:55]
	v_pk_mul_f32 v[158:159], v[78:79], s[54:55]
	v_pk_fma_f32 v[114:115], v[60:61], s[38:39], v[116:117]
	v_pk_fma_f32 v[120:121], v[60:61], s[38:39], v[116:117] neg_lo:[1,0,0] neg_hi:[1,0,0]
	v_pk_fma_f32 v[160:161], v[56:57], s[38:39], v[158:159]
	v_mov_b32_e32 v120, v114
	v_pk_add_f32 v[122:123], v[120:121], v[118:119]
	v_pk_mul_f32 v[120:121], v[72:73], s[46:47]
	v_pk_fma_f32 v[162:163], v[56:57], s[38:39], v[158:159] neg_lo:[1,0,0] neg_hi:[1,0,0]
	v_pk_fma_f32 v[118:119], v[62:63], s[22:23], v[120:121]
	v_pk_fma_f32 v[124:125], v[62:63], s[22:23], v[120:121] neg_lo:[1,0,0] neg_hi:[1,0,0]
	v_mov_b32_e32 v162, v160
	v_mov_b32_e32 v124, v118
	v_pk_add_f32 v[128:129], v[124:125], v[122:123]
	v_pk_mul_f32 v[124:125], v[70:71], s[36:37]
	v_pk_mul_f32 v[78:79], v[78:79], s[46:47]
	v_pk_fma_f32 v[122:123], v[64:65], s[16:17], v[124:125]
	v_pk_fma_f32 v[130:131], v[64:65], s[16:17], v[124:125] neg_lo:[1,0,0] neg_hi:[1,0,0]
	v_pk_fma_f32 v[182:183], v[56:57], s[22:23], v[78:79]
	v_mov_b32_e32 v130, v122
	v_pk_add_f32 v[128:129], v[130:131], v[128:129]
	v_pk_mul_f32 v[130:131], v[80:81], s[52:53]
	v_pk_fma_f32 v[186:187], v[56:57], s[22:23], v[78:79] neg_lo:[1,0,0] neg_hi:[1,0,0]
	v_pk_fma_f32 v[132:133], v[54:55], s[30:31], v[130:131]
	v_pk_fma_f32 v[134:135], v[54:55], s[30:31], v[130:131] neg_lo:[1,0,0] neg_hi:[1,0,0]
	v_mov_b32_e32 v186, v182
	v_mov_b32_e32 v134, v132
	v_pk_add_f32 v[134:135], v[28:29], v[134:135]
	v_pk_fma_f32 v[14:15], v[54:55], s[24:25], v[14:15] neg_lo:[0,0,1] neg_hi:[0,0,1]
	v_pk_add_f32 v[134:135], v[140:141], v[134:135]
	v_pk_mul_f32 v[140:141], v[76:77], s[56:57]
	v_mov_b32_e32 v15, v13
	v_pk_fma_f32 v[142:143], v[58:59], s[48:49], v[140:141]
	v_pk_fma_f32 v[144:145], v[58:59], s[48:49], v[140:141] neg_lo:[1,0,0] neg_hi:[1,0,0]
	v_pk_add_f32 v[12:13], v[28:29], v[14:15]
	v_mov_b32_e32 v144, v142
	v_pk_add_f32 v[134:135], v[144:145], v[134:135]
	v_pk_mul_f32 v[144:145], v[74:75], s[36:37]
	v_pk_fma_f32 v[14:15], v[56:57], s[28:29], v[18:19] neg_lo:[0,0,1] neg_hi:[0,0,1]
	v_pk_fma_f32 v[146:147], v[60:61], s[16:17], v[144:145]
	v_pk_fma_f32 v[148:149], v[60:61], s[16:17], v[144:145] neg_lo:[1,0,0] neg_hi:[1,0,0]
	v_mov_b32_e32 v15, v17
	v_mov_b32_e32 v148, v146
	v_pk_add_f32 v[134:135], v[148:149], v[134:135]
	v_pk_mul_f32 v[148:149], v[72:73], s[50:51]
	v_pk_add_f32 v[12:13], v[14:15], v[12:13]
	v_pk_fma_f32 v[150:151], v[62:63], s[28:29], v[148:149]
	v_pk_fma_f32 v[152:153], v[62:63], s[28:29], v[148:149] neg_lo:[1,0,0] neg_hi:[1,0,0]
	v_pk_fma_f32 v[14:15], v[58:59], s[30:31], v[34:35] neg_lo:[0,0,1] neg_hi:[0,0,1]
	v_mov_b32_e32 v152, v150
	v_pk_add_f32 v[134:135], v[152:153], v[134:135]
	v_pk_mul_f32 v[152:153], v[70:71], s[42:43]
	v_mov_b32_e32 v15, v31
	v_pk_fma_f32 v[154:155], v[64:65], s[14:15], v[152:153]
	v_pk_fma_f32 v[156:157], v[64:65], s[14:15], v[152:153] neg_lo:[1,0,0] neg_hi:[1,0,0]
	v_pk_add_f32 v[12:13], v[14:15], v[12:13]
	v_mov_b32_e32 v156, v154
	v_pk_add_f32 v[134:135], v[156:157], v[134:135]
	ds_write2_b64 v127, v[128:129], v[134:135] offset0:2 offset1:3
	v_pk_mul_f32 v[128:129], v[80:81], s[40:41]
	v_pk_mul_f32 v[80:81], v[80:81], s[42:43]
	v_pk_fma_f32 v[134:135], v[54:55], s[18:19], v[128:129]
	v_pk_fma_f32 v[156:157], v[54:55], s[18:19], v[128:129] neg_lo:[1,0,0] neg_hi:[1,0,0]
	v_pk_fma_f32 v[180:181], v[54:55], s[14:15], v[80:81] neg_lo:[1,0,0] neg_hi:[1,0,0]
	v_mov_b32_e32 v156, v134
	v_pk_add_f32 v[156:157], v[28:29], v[156:157]
	v_pk_fma_f32 v[14:15], v[60:61], s[18:19], v[38:39] neg_lo:[0,0,1] neg_hi:[0,0,1]
	v_pk_add_f32 v[156:157], v[162:163], v[156:157]
	v_pk_mul_f32 v[162:163], v[76:77], s[36:37]
	v_pk_mul_f32 v[76:77], v[76:77], s[50:51]
	v_pk_fma_f32 v[164:165], v[58:59], s[16:17], v[162:163]
	v_pk_fma_f32 v[166:167], v[58:59], s[16:17], v[162:163] neg_lo:[1,0,0] neg_hi:[1,0,0]
	v_pk_fma_f32 v[188:189], v[58:59], s[28:29], v[76:77] neg_lo:[1,0,0] neg_hi:[1,0,0]
	v_mov_b32_e32 v166, v164
	v_pk_add_f32 v[156:157], v[166:167], v[156:157]
	v_pk_mul_f32 v[166:167], v[74:75], s[52:53]
	s_mov_b32 s53, 0x3e750f2a
	v_pk_fma_f32 v[168:169], v[60:61], s[30:31], v[166:167]
	v_pk_fma_f32 v[170:171], v[60:61], s[30:31], v[166:167] neg_lo:[1,0,0] neg_hi:[1,0,0]
	s_mov_b32 s34, s53
	v_mov_b32_e32 v170, v168
	v_pk_add_f32 v[156:157], v[170:171], v[156:157]
	s_mov_b32 s52, s35
	v_pk_mul_f32 v[170:171], v[72:73], s[34:35]
	v_pk_mul_f32 v[74:75], v[74:75], s[34:35]
	v_pk_fma_f32 v[172:173], v[62:63], s[52:53], v[170:171]
	v_pk_fma_f32 v[174:175], v[62:63], s[52:53], v[170:171] neg_lo:[1,0,0] neg_hi:[1,0,0]
	v_pk_fma_f32 v[190:191], v[60:61], s[52:53], v[74:75] neg_lo:[1,0,0] neg_hi:[1,0,0]
	v_mov_b32_e32 v174, v172
	v_pk_add_f32 v[156:157], v[174:175], v[156:157]
	v_pk_mul_f32 v[174:175], v[70:71], s[44:45]
	v_pk_mul_f32 v[72:73], v[72:73], s[36:37]
	v_pk_fma_f32 v[176:177], v[64:65], s[26:27], v[174:175]
	v_pk_fma_f32 v[178:179], v[64:65], s[26:27], v[174:175] neg_lo:[1,0,0] neg_hi:[1,0,0]
	v_pk_fma_f32 v[192:193], v[62:63], s[16:17], v[72:73] neg_lo:[1,0,0] neg_hi:[1,0,0]
	v_mov_b32_e32 v178, v176
	v_pk_add_f32 v[156:157], v[178:179], v[156:157]
	v_pk_fma_f32 v[178:179], v[54:55], s[14:15], v[80:81]
	v_pk_mul_f32 v[70:71], v[70:71], s[40:41]
	v_mov_b32_e32 v180, v178
	v_pk_add_f32 v[180:181], v[28:29], v[180:181]
	v_pk_fma_f32 v[194:195], v[64:65], s[18:19], v[70:71] neg_lo:[1,0,0] neg_hi:[1,0,0]
	v_pk_add_f32 v[180:181], v[186:187], v[180:181]
	v_pk_fma_f32 v[186:187], v[58:59], s[28:29], v[76:77]
	v_mov_b32_e32 v15, v37
	v_mov_b32_e32 v188, v186
	v_pk_add_f32 v[180:181], v[188:189], v[180:181]
	v_pk_fma_f32 v[188:189], v[60:61], s[52:53], v[74:75]
	v_pk_add_f32 v[12:13], v[14:15], v[12:13]
	v_mov_b32_e32 v190, v188
	v_pk_add_f32 v[180:181], v[190:191], v[180:181]
	v_pk_fma_f32 v[190:191], v[62:63], s[16:17], v[72:73]
	v_pk_fma_f32 v[14:15], v[62:63], s[14:15], v[42:43] neg_lo:[0,0,1] neg_hi:[0,0,1]
	v_mov_b32_e32 v192, v190
	v_pk_add_f32 v[180:181], v[192:193], v[180:181]
	v_pk_fma_f32 v[192:193], v[64:65], s[18:19], v[70:71]
	v_mov_b32_e32 v15, v41
	v_mov_b32_e32 v194, v192
	v_pk_add_f32 v[180:181], v[194:195], v[180:181]
	ds_write2_b64 v127, v[156:157], v[180:181] offset0:4 offset1:5
	v_pk_mul_f32 v[156:157], v[54:55], s[10:11]
	v_pk_add_f32 v[12:13], v[14:15], v[12:13]
	v_pk_add_f32 v[68:69], v[68:69], v[156:157] neg_lo:[0,1] neg_hi:[0,1]
	v_pk_fma_f32 v[14:15], v[64:65], s[10:11], v[52:53] neg_lo:[0,0,1] neg_hi:[0,0,1]
	v_mov_b32_e32 v67, v69
	v_pk_mul_f32 v[68:69], v[56:57], s[16:17]
	v_pk_add_f32 v[66:67], v[28:29], v[66:67]
	v_pk_add_f32 v[68:69], v[82:83], v[68:69] neg_lo:[0,1] neg_hi:[0,1]
	v_mov_b32_e32 v15, v45
	v_mov_b32_e32 v85, v69
	v_pk_mul_f32 v[68:69], v[58:59], s[14:15]
	v_pk_add_f32 v[66:67], v[84:85], v[66:67]
	v_pk_add_f32 v[68:69], v[86:87], v[68:69] neg_lo:[0,1] neg_hi:[0,1]
	v_pk_add_f32 v[12:13], v[14:15], v[12:13]
	v_mov_b32_e32 v89, v69
	v_pk_mul_f32 v[68:69], v[60:61], s[26:27]
	v_pk_add_f32 v[66:67], v[88:89], v[66:67]
	v_pk_add_f32 v[68:69], v[90:91], v[68:69] neg_lo:[0,1] neg_hi:[0,1]
	ds_write_b64 v127, v[12:13] offset:96
	v_mov_b32_e32 v93, v69
	v_pk_mul_f32 v[68:69], v[62:63], s[18:19]
	v_pk_add_f32 v[66:67], v[92:93], v[66:67]
	v_pk_add_f32 v[68:69], v[94:95], v[68:69] neg_lo:[0,1] neg_hi:[0,1]
	s_nop 0
	v_mov_b32_e32 v97, v69
	v_pk_mul_f32 v[68:69], v[64:65], s[22:23]
	v_pk_add_f32 v[66:67], v[96:97], v[66:67]
	v_pk_add_f32 v[68:69], v[102:103], v[68:69] neg_lo:[0,1] neg_hi:[0,1]
	s_nop 0
	v_mov_b32_e32 v109, v69
	v_pk_add_f32 v[66:67], v[108:109], v[66:67]
	ds_write2_b64 v127, v[66:67], v[32:33] offset0:6 offset1:7
	v_pk_fma_f32 v[66:67], v[54:55], s[14:15], v[80:81] neg_lo:[0,0,1] neg_hi:[0,0,1]
	v_pk_fma_f32 v[68:69], v[56:57], s[22:23], v[78:79] neg_lo:[0,0,1] neg_hi:[0,0,1]
	v_mov_b32_e32 v67, v179
	v_mov_b32_e32 v69, v183
	v_pk_add_f32 v[66:67], v[28:29], v[66:67]
	s_nop 0
	v_pk_add_f32 v[66:67], v[68:69], v[66:67]
	v_pk_fma_f32 v[68:69], v[58:59], s[28:29], v[76:77] neg_lo:[0,0,1] neg_hi:[0,0,1]
	s_nop 0
	v_mov_b32_e32 v69, v187
	v_pk_add_f32 v[66:67], v[68:69], v[66:67]
	v_pk_fma_f32 v[68:69], v[60:61], s[52:53], v[74:75] neg_lo:[0,0,1] neg_hi:[0,0,1]
	s_nop 0
	v_mov_b32_e32 v69, v189
	v_pk_add_f32 v[66:67], v[68:69], v[66:67]
	v_pk_fma_f32 v[68:69], v[62:63], s[16:17], v[72:73] neg_lo:[0,0,1] neg_hi:[0,0,1]
	s_nop 0
	v_mov_b32_e32 v69, v191
	v_pk_add_f32 v[66:67], v[68:69], v[66:67]
	v_pk_fma_f32 v[68:69], v[64:65], s[18:19], v[70:71] neg_lo:[0,0,1] neg_hi:[0,0,1]
	v_pk_fma_f32 v[70:71], v[56:57], s[38:39], v[158:159] neg_lo:[0,0,1] neg_hi:[0,0,1]
	v_mov_b32_e32 v69, v193
	v_pk_add_f32 v[66:67], v[68:69], v[66:67]
	v_pk_fma_f32 v[68:69], v[54:55], s[18:19], v[128:129] neg_lo:[0,0,1] neg_hi:[0,0,1]
	v_mov_b32_e32 v71, v161
	v_mov_b32_e32 v69, v135
	v_pk_add_f32 v[68:69], v[28:29], v[68:69]
	s_nop 0
	v_pk_add_f32 v[68:69], v[70:71], v[68:69]
	v_pk_fma_f32 v[70:71], v[58:59], s[16:17], v[162:163] neg_lo:[0,0,1] neg_hi:[0,0,1]
	s_nop 0
	v_mov_b32_e32 v71, v165
	v_pk_add_f32 v[68:69], v[70:71], v[68:69]
	v_pk_fma_f32 v[70:71], v[60:61], s[30:31], v[166:167] neg_lo:[0,0,1] neg_hi:[0,0,1]
	s_nop 0
	v_mov_b32_e32 v71, v169
	v_pk_add_f32 v[68:69], v[70:71], v[68:69]
	v_pk_fma_f32 v[70:71], v[62:63], s[52:53], v[170:171] neg_lo:[0,0,1] neg_hi:[0,0,1]
	s_nop 0
	v_mov_b32_e32 v71, v173
	v_pk_add_f32 v[68:69], v[70:71], v[68:69]
	v_pk_fma_f32 v[70:71], v[64:65], s[26:27], v[174:175] neg_lo:[0,0,1] neg_hi:[0,0,1]
	s_nop 0
	v_mov_b32_e32 v71, v177
	v_pk_add_f32 v[68:69], v[70:71], v[68:69]
	ds_write2_b64 v127, v[66:67], v[68:69] offset0:8 offset1:9
	v_pk_fma_f32 v[66:67], v[54:55], s[30:31], v[130:131] neg_lo:[0,0,1] neg_hi:[0,0,1]
	v_pk_fma_f32 v[68:69], v[56:57], s[10:11], v[136:137] neg_lo:[0,0,1] neg_hi:[0,0,1]
	v_mov_b32_e32 v67, v133
	v_pk_add_f32 v[66:67], v[28:29], v[66:67]
	v_mov_b32_e32 v69, v139
	v_pk_add_f32 v[66:67], v[68:69], v[66:67]
	v_pk_fma_f32 v[68:69], v[58:59], s[48:49], v[140:141] neg_lo:[0,0,1] neg_hi:[0,0,1]
	v_pk_fma_f32 v[70:71], v[56:57], s[18:19], v[106:107] neg_lo:[0,0,1] neg_hi:[0,0,1]
	v_mov_b32_e32 v69, v143
	v_pk_add_f32 v[66:67], v[68:69], v[66:67]
	v_pk_fma_f32 v[68:69], v[60:61], s[16:17], v[144:145] neg_lo:[0,0,1] neg_hi:[0,0,1]
	v_mov_b32_e32 v71, v105
	v_mov_b32_e32 v69, v147
	v_pk_add_f32 v[66:67], v[68:69], v[66:67]
	v_pk_fma_f32 v[68:69], v[62:63], s[28:29], v[148:149] neg_lo:[0,0,1] neg_hi:[0,0,1]
	s_nop 0
	v_mov_b32_e32 v69, v151
	v_pk_add_f32 v[66:67], v[68:69], v[66:67]
	v_pk_fma_f32 v[68:69], v[64:65], s[14:15], v[152:153] neg_lo:[0,0,1] neg_hi:[0,0,1]
	s_nop 0
	;; [unrolled: 4-line block ×3, first 2 shown]
	v_mov_b32_e32 v69, v99
	v_pk_add_f32 v[68:69], v[28:29], v[68:69]
	s_nop 0
	v_pk_add_f32 v[68:69], v[70:71], v[68:69]
	v_pk_fma_f32 v[70:71], v[58:59], s[10:11], v[112:113] neg_lo:[0,0,1] neg_hi:[0,0,1]
	s_nop 0
	v_mov_b32_e32 v71, v111
	v_pk_add_f32 v[68:69], v[70:71], v[68:69]
	v_pk_fma_f32 v[70:71], v[60:61], s[38:39], v[116:117] neg_lo:[0,0,1] neg_hi:[0,0,1]
	s_nop 0
	v_mov_b32_e32 v71, v115
	;; [unrolled: 4-line block ×4, first 2 shown]
	v_pk_add_f32 v[68:69], v[70:71], v[68:69]
	ds_write2_b64 v127, v[66:67], v[68:69] offset0:10 offset1:11
.LBB0_19:
	s_or_b64 exec, exec, s[20:21]
	s_waitcnt lgkmcnt(0)
	; wave barrier
	s_waitcnt lgkmcnt(0)
	ds_read2_b64 v[12:15], v47 offset1:52
	v_mov_b32_e32 v28, v9
	ds_read2_b64 v[16:19], v47 offset0:104 offset1:156
	v_add_u32_e32 v40, 0x400, v47
	s_mov_b32 s14, 0x3d64c772
	s_waitcnt lgkmcnt(1)
	v_pk_mul_f32 v[28:29], v[28:29], v[14:15] op_sel:[0,1] op_sel_hi:[1,0]
	v_pk_mul_f32 v[30:31], v[8:9], v[14:15] op_sel:[0,1] op_sel_hi:[1,0]
	v_pk_fma_f32 v[28:29], v[8:9], v[14:15], v[28:29]
	s_waitcnt lgkmcnt(0)
	v_pk_mul_f32 v[36:37], v[4:5], v[18:19] op_sel:[0,1] op_sel_hi:[1,0]
	v_mov_b32_e32 v29, v30
	v_pk_fma_f32 v[14:15], v[8:9], v[14:15], v[28:29] op_sel:[0,1,0] op_sel_hi:[1,0,1] neg_lo:[1,0,0] neg_hi:[1,0,0]
	v_mov_b32_e32 v8, v11
	v_pk_mul_f32 v[8:9], v[8:9], v[16:17] op_sel:[0,1] op_sel_hi:[1,0]
	v_mov_b32_e32 v29, v36
	v_pk_fma_f32 v[30:31], v[10:11], v[16:17], v[8:9]
	v_pk_mul_f32 v[8:9], v[10:11], v[16:17] op_sel:[0,1] op_sel_hi:[1,0]
	s_mov_b32 s10, 0xbf955555
	v_mov_b32_e32 v9, v8
	v_pk_fma_f32 v[16:17], v[10:11], v[16:17], v[8:9] op_sel:[0,1,0] op_sel_hi:[1,0,1] neg_lo:[1,0,0] neg_hi:[1,0,0]
	v_mov_b32_e32 v8, v5
	v_pk_mul_f32 v[8:9], v[8:9], v[18:19] op_sel:[0,1] op_sel_hi:[1,0]
	v_mov_b32_e32 v31, v17
	v_pk_fma_f32 v[34:35], v[4:5], v[18:19], v[8:9]
	ds_read2_b64 v[8:11], v40 offset0:80 offset1:132
	v_pk_fma_f32 v[4:5], v[4:5], v[18:19], v[28:29] op_sel:[0,1,0] op_sel_hi:[1,0,1] neg_lo:[1,0,0] neg_hi:[1,0,0]
	v_mov_b32_e32 v29, v15
	v_mov_b32_e32 v4, v7
	;; [unrolled: 1-line block ×3, first 2 shown]
	s_waitcnt lgkmcnt(0)
	v_pk_mul_f32 v[18:19], v[4:5], v[8:9] op_sel:[0,1] op_sel_hi:[1,0]
	v_pk_mul_f32 v[36:37], v[6:7], v[8:9] op_sel:[0,1] op_sel_hi:[1,0]
	v_pk_fma_f32 v[18:19], v[6:7], v[8:9], v[18:19]
	v_mov_b32_e32 v4, v1
	v_mov_b32_e32 v19, v36
	ds_read_b64 v[36:37], v47 offset:2496
	v_pk_fma_f32 v[6:7], v[6:7], v[8:9], v[18:19] op_sel:[0,1,0] op_sel_hi:[1,0,1] neg_lo:[1,0,0] neg_hi:[1,0,0]
	v_pk_mul_f32 v[8:9], v[4:5], v[10:11] op_sel:[0,1] op_sel_hi:[1,0]
	v_pk_mul_f32 v[38:39], v[0:1], v[10:11] op_sel:[0,1] op_sel_hi:[1,0]
	v_pk_fma_f32 v[8:9], v[0:1], v[10:11], v[8:9]
	v_mov_b32_e32 v19, v7
	v_mov_b32_e32 v9, v38
	v_pk_fma_f32 v[0:1], v[0:1], v[10:11], v[8:9] op_sel:[0,1,0] op_sel_hi:[1,0,1] neg_lo:[1,0,0] neg_hi:[1,0,0]
	s_waitcnt lgkmcnt(0)
	v_pk_mul_f32 v[38:39], v[2:3], v[36:37] op_sel:[0,1] op_sel_hi:[1,0]
	v_mov_b32_e32 v0, v3
	v_pk_mul_f32 v[10:11], v[0:1], v[36:37] op_sel:[0,1] op_sel_hi:[1,0]
	v_mov_b32_e32 v9, v38
	v_pk_fma_f32 v[10:11], v[2:3], v[36:37], v[10:11]
	v_pk_fma_f32 v[2:3], v[2:3], v[36:37], v[8:9] op_sel:[0,1,0] op_sel_hi:[1,0,1] neg_lo:[1,0,0] neg_hi:[1,0,0]
	v_mov_b32_e32 v9, v1
	v_mov_b32_e32 v11, v3
	v_pk_add_f32 v[2:3], v[28:29], v[10:11]
	v_pk_add_f32 v[0:1], v[30:31], v[8:9]
	;; [unrolled: 1-line block ×4, first 2 shown]
	v_pk_add_f32 v[8:9], v[30:31], v[8:9] neg_lo:[0,1] neg_hi:[0,1]
	v_pk_add_f32 v[16:17], v[0:1], v[2:3] neg_lo:[0,1] neg_hi:[0,1]
	;; [unrolled: 1-line block ×4, first 2 shown]
	v_mov_b32_e32 v30, v14
	v_mov_b32_e32 v31, v5
	v_mov_b32_e32 v5, v15
	v_pk_add_f32 v[6:7], v[18:19], v[34:35] neg_lo:[0,1] neg_hi:[0,1]
	v_pk_add_f32 v[4:5], v[30:31], v[4:5]
	v_pk_add_f32 v[10:11], v[28:29], v[10:11] neg_lo:[0,1] neg_hi:[0,1]
	v_pk_add_f32 v[28:29], v[6:7], v[8:9] op_sel:[1,1] op_sel_hi:[0,0] neg_lo:[0,1] neg_hi:[0,1]
	v_pk_add_f32 v[14:15], v[12:13], v[4:5]
	v_pk_mul_f32 v[12:13], v[0:1], s[14:15] op_sel_hi:[1,0]
	s_mov_b32 s14, 0x3f3bfb3b
	s_mov_b32 s18, 0x3f08b237
	v_pk_add_f32 v[18:19], v[6:7], v[8:9] op_sel:[1,1] op_sel_hi:[0,0]
	v_pk_add_f32 v[8:9], v[8:9], v[10:11] op_sel:[1,1] op_sel_hi:[0,0] neg_lo:[0,1] neg_hi:[0,1]
	v_pk_mul_f32 v[0:1], v[16:17], s[14:15] op_sel_hi:[1,0]
	v_pk_mul_f32 v[28:29], v[28:29], s[18:19] op_sel_hi:[1,0]
	s_mov_b32 s18, 0xbf5ff5aa
	v_pk_fma_f32 v[4:5], v[4:5], s[10:11], v[14:15] op_sel_hi:[1,0,1]
	s_mov_b32 s10, 0xbf4a47b2
	v_pk_add_f32 v[6:7], v[10:11], v[6:7] op_sel:[1,1] op_sel_hi:[0,0] neg_lo:[0,1] neg_hi:[0,1]
	v_pk_add_f32 v[10:11], v[18:19], v[10:11] op_sel:[0,1] op_sel_hi:[1,0]
	s_mov_b32 s16, 0xbee1c552
	v_pk_mul_f32 v[30:31], v[8:9], s[18:19] op_sel_hi:[1,0]
	v_pk_fma_f32 v[16:17], v[16:17], s[14:15], v[12:13] op_sel_hi:[1,0,1] neg_lo:[0,0,1] neg_hi:[0,0,1]
	v_fmac_f32_e32 v13, 0x3f4a47b2, v3
	v_fma_f32 v35, v2, s10, -v0
	v_fma_f32 v3, v3, s10, -v1
	v_pk_fma_f32 v[0:1], v[8:9], s[18:19], v[28:29] op_sel_hi:[1,0,1] neg_lo:[0,0,1] neg_hi:[0,0,1]
	s_mov_b32 s10, 0x3eae86e6
	v_pk_mul_f32 v[18:19], v[10:11], s[16:17] op_sel_hi:[1,0]
	v_fmamk_f32 v34, v2, 0x3f4a47b2, v12
	v_fmamk_f32 v36, v7, 0xbeae86e6, v29
	v_fmac_f32_e32 v28, 0xbeae86e6, v6
	v_fma_f32 v37, v7, s10, -v31
	v_fma_f32 v29, v6, s10, -v30
	v_pk_add_f32 v[6:7], v[16:17], v[4:5]
	v_pk_fma_f32 v[0:1], v[10:11], s[16:17], v[0:1] op_sel_hi:[1,0,1]
	v_pk_add_f32 v[10:11], v[34:35], v[4:5] op_sel_hi:[1,0]
	v_pk_add_f32 v[8:9], v[6:7], v[0:1]
	v_pk_add_f32 v[16:17], v[18:19], v[28:29] op_sel_hi:[0,1]
	v_mov_b32_e32 v2, v13
	v_pk_add_f32 v[6:7], v[6:7], v[0:1] neg_lo:[0,1] neg_hi:[0,1]
	v_mov_b32_e32 v0, v8
	v_pk_add_f32 v[30:31], v[10:11], v[16:17] neg_lo:[0,1] neg_hi:[0,1]
	v_pk_add_f32 v[2:3], v[2:3], v[4:5] op_sel:[0,1]
	v_pk_add_f32 v[4:5], v[18:19], v[36:37] op_sel:[1,0]
	v_mov_b32_e32 v18, v10
	v_pk_add_f32 v[28:29], v[16:17], v[10:11]
	v_mov_b32_e32 v8, v17
	v_mov_b32_e32 v10, v11
	;; [unrolled: 1-line block ×3, first 2 shown]
	v_pk_add_f32 v[12:13], v[4:5], v[2:3]
	v_mov_b32_e32 v7, v2
	v_mov_b32_e32 v19, v4
	v_pk_add_f32 v[10:11], v[8:9], v[10:11]
	v_pk_add_f32 v[2:3], v[2:3], v[4:5] neg_lo:[0,1] neg_hi:[0,1]
	v_pk_add_f32 v[18:19], v[6:7], v[18:19] neg_lo:[0,1] neg_hi:[0,1]
	v_mov_b32_e32 v11, v3
	v_mov_b32_e32 v2, v31
	;; [unrolled: 1-line block ×3, first 2 shown]
	s_waitcnt lgkmcnt(0)
	; wave barrier
	v_mov_b32_e32 v29, v19
	v_mov_b32_e32 v7, v9
	ds_write2_b64 v126, v[0:1], v[2:3] offset0:52 offset1:65
	v_mov_b32_e32 v2, v30
	v_mov_b32_e32 v3, v12
	ds_write2_b64 v126, v[14:15], v[28:29] offset1:13
	ds_write2_b64 v126, v[10:11], v[6:7] offset0:26 offset1:39
	ds_write_b64 v126, v[2:3] offset:624
	s_waitcnt lgkmcnt(0)
	; wave barrier
	s_waitcnt lgkmcnt(0)
	ds_read2_b64 v[4:7], v47 offset1:91
	ds_read2_b64 v[8:11], v40 offset0:54 offset1:145
	s_and_saveexec_b64 s[10:11], s[2:3]
	s_xor_b64 s[2:3], exec, s[10:11]
	s_andn2_saveexec_b64 s[2:3], s[2:3]
	s_cbranch_execz .LBB0_21
; %bb.20:
	v_add_u32_e32 v12, 0x400, v47
	ds_read2_b64 v[0:3], v47 offset0:52 offset1:143
	ds_read2_b64 v[30:33], v12 offset0:106 offset1:197
	s_waitcnt lgkmcnt(1)
	v_mov_b32_e32 v13, v3
	s_waitcnt lgkmcnt(0)
	v_mov_b32_e32 v12, v31
	v_mov_b32_e32 v31, v2
.LBB0_21:
	s_or_b64 exec, exec, s[2:3]
	s_waitcnt lgkmcnt(1)
	v_pk_mul_f32 v[2:3], v[24:25], v[6:7] op_sel:[1,0]
	s_waitcnt lgkmcnt(0)
	v_pk_mul_f32 v[14:15], v[26:27], v[8:9] op_sel:[1,0]
	v_pk_fma_f32 v[18:19], v[24:25], v[6:7], v[2:3] op_sel:[0,0,1] op_sel_hi:[1,1,0]
	v_pk_fma_f32 v[2:3], v[24:25], v[6:7], v[2:3] op_sel:[0,0,1] op_sel_hi:[0,1,0] neg_lo:[0,0,1] neg_hi:[0,0,1]
	v_pk_mul_f32 v[16:17], v[50:51], v[10:11] op_sel:[1,0]
	v_mov_b32_e32 v19, v3
	v_pk_fma_f32 v[2:3], v[26:27], v[8:9], v[14:15] op_sel:[0,0,1] op_sel_hi:[1,1,0]
	v_pk_fma_f32 v[6:7], v[26:27], v[8:9], v[14:15] op_sel:[0,0,1] op_sel_hi:[0,1,0] neg_lo:[0,0,1] neg_hi:[0,0,1]
	v_mov_b32_e32 v3, v7
	v_pk_fma_f32 v[6:7], v[50:51], v[10:11], v[16:17] op_sel:[0,0,1] op_sel_hi:[1,1,0]
	v_pk_fma_f32 v[8:9], v[50:51], v[10:11], v[16:17] op_sel:[0,0,1] op_sel_hi:[0,1,0] neg_lo:[0,0,1] neg_hi:[0,0,1]
	v_mov_b32_e32 v7, v9
	v_pk_add_f32 v[2:3], v[4:5], v[2:3] neg_lo:[0,1] neg_hi:[0,1]
	v_pk_add_f32 v[6:7], v[18:19], v[6:7] neg_lo:[0,1] neg_hi:[0,1]
	v_pk_fma_f32 v[4:5], v[4:5], 2.0, v[2:3] op_sel_hi:[1,0,1] neg_lo:[0,0,1] neg_hi:[0,0,1]
	v_pk_fma_f32 v[8:9], v[18:19], 2.0, v[6:7] op_sel_hi:[1,0,1] neg_lo:[0,0,1] neg_hi:[0,0,1]
	v_pk_add_f32 v[10:11], v[2:3], v[6:7] op_sel:[0,1] op_sel_hi:[1,0]
	v_pk_add_f32 v[6:7], v[2:3], v[6:7] op_sel:[0,1] op_sel_hi:[1,0] neg_lo:[0,1] neg_hi:[0,1]
	v_pk_add_f32 v[8:9], v[4:5], v[8:9] neg_lo:[0,1] neg_hi:[0,1]
	v_mov_b32_e32 v11, v7
	v_pk_fma_f32 v[4:5], v[4:5], 2.0, v[8:9] op_sel_hi:[1,0,1] neg_lo:[0,0,1] neg_hi:[0,0,1]
	v_pk_fma_f32 v[2:3], v[2:3], 2.0, v[10:11] op_sel_hi:[1,0,1] neg_lo:[0,0,1] neg_hi:[0,0,1]
	ds_write2_b64 v47, v[4:5], v[2:3] offset1:91
	v_add_u32_e32 v2, 0x400, v47
	ds_write2_b64 v2, v[8:9], v[10:11] offset0:54 offset1:145
	s_and_saveexec_b64 s[2:3], s[0:1]
	s_cbranch_execz .LBB0_23
; %bb.22:
	v_pk_mul_f32 v[4:5], v[22:23], v[12:13] op_sel_hi:[1,0]
	v_pk_mul_f32 v[6:7], v[20:21], v[12:13] op_sel:[0,1]
	v_pk_fma_f32 v[10:11], v[22:23], v[30:31], v[4:5] op_sel:[0,0,1] op_sel_hi:[1,1,0]
	v_pk_fma_f32 v[4:5], v[22:23], v[30:31], v[4:5] op_sel:[0,0,1] op_sel_hi:[1,0,0] neg_lo:[1,0,0] neg_hi:[1,0,0]
	v_pk_mul_f32 v[8:9], v[48:49], v[32:33] op_sel:[0,1]
	v_mov_b32_e32 v11, v5
	v_pk_add_f32 v[4:5], v[0:1], v[10:11] neg_lo:[0,1] neg_hi:[0,1]
	v_pk_fma_f32 v[10:11], v[20:21], v[30:31], v[6:7] op_sel:[0,1,1] op_sel_hi:[1,1,0]
	v_pk_fma_f32 v[6:7], v[20:21], v[30:31], v[6:7] op_sel:[0,1,1] op_sel_hi:[1,1,0] neg_lo:[1,0,0] neg_hi:[1,0,0]
	v_pk_fma_f32 v[0:1], v[0:1], 2.0, v[4:5] op_sel_hi:[1,0,1] neg_lo:[0,0,1] neg_hi:[0,0,1]
	v_mov_b32_e32 v11, v7
	v_pk_fma_f32 v[6:7], v[48:49], v[32:33], v[8:9] op_sel:[0,0,1] op_sel_hi:[1,1,0]
	v_pk_fma_f32 v[8:9], v[48:49], v[32:33], v[8:9] op_sel:[0,0,1] op_sel_hi:[1,0,0] neg_lo:[1,0,0] neg_hi:[1,0,0]
	s_nop 0
	v_mov_b32_e32 v7, v9
	v_pk_add_f32 v[6:7], v[10:11], v[6:7] neg_lo:[0,1] neg_hi:[0,1]
	s_nop 0
	v_pk_fma_f32 v[8:9], v[10:11], 2.0, v[6:7] op_sel_hi:[1,0,1] neg_lo:[0,0,1] neg_hi:[0,0,1]
	v_pk_add_f32 v[10:11], v[4:5], v[6:7] op_sel:[0,1] op_sel_hi:[1,0]
	v_pk_add_f32 v[6:7], v[4:5], v[6:7] op_sel:[0,1] op_sel_hi:[1,0] neg_lo:[0,1] neg_hi:[0,1]
	v_pk_add_f32 v[8:9], v[0:1], v[8:9] neg_lo:[0,1] neg_hi:[0,1]
	v_mov_b32_e32 v11, v7
	v_pk_fma_f32 v[0:1], v[0:1], 2.0, v[8:9] op_sel_hi:[1,0,1] neg_lo:[0,0,1] neg_hi:[0,0,1]
	v_pk_fma_f32 v[4:5], v[4:5], 2.0, v[10:11] op_sel_hi:[1,0,1] neg_lo:[0,0,1] neg_hi:[0,0,1]
	ds_write2_b64 v47, v[0:1], v[4:5] offset0:52 offset1:143
	ds_write2_b64 v2, v[8:9], v[10:11] offset0:106 offset1:197
.LBB0_23:
	s_or_b64 exec, exec, s[2:3]
	s_waitcnt lgkmcnt(0)
	; wave barrier
	s_waitcnt lgkmcnt(0)
	s_and_b64 exec, exec, vcc
	s_cbranch_execz .LBB0_25
; %bb.24:
	global_load_dwordx2 v[8:9], v47, s[8:9]
	global_load_dwordx2 v[10:11], v47, s[8:9] offset:224
	global_load_dwordx2 v[12:13], v47, s[8:9] offset:448
	;; [unrolled: 1-line block ×4, first 2 shown]
	ds_read_b64 v[18:19], v47
	ds_read2_b64 v[0:3], v47 offset0:28 offset1:56
	ds_read2_b64 v[4:7], v47 offset0:84 offset1:112
	global_load_dwordx2 v[26:27], v47, s[8:9] offset:1120
	global_load_dwordx2 v[28:29], v47, s[8:9] offset:1344
	v_mad_u64_u32 v[22:23], s[0:1], s6, v46, 0
	v_mad_u64_u32 v[24:25], s[2:3], s4, v184, 0
	v_mov_b32_e32 v30, v23
	v_mov_b32_e32 v32, v25
	v_mad_u64_u32 v[30:31], s[6:7], s7, v46, v[30:31]
	v_mov_b32_e32 v20, s12
	v_mov_b32_e32 v21, s13
	v_mad_u64_u32 v[32:33], s[6:7], s5, v184, v[32:33]
	v_mov_b32_e32 v23, v30
	v_mov_b32_e32 v25, v32
	v_lshl_add_u64 v[20:21], v[22:23], 3, v[20:21]
	v_mov_b32_e32 v38, 0xe0
	v_lshl_add_u64 v[22:23], v[24:25], 3, v[20:21]
	s_mul_i32 s2, s5, 0xe0
	v_mad_u64_u32 v[24:25], s[6:7], s4, v38, v[22:23]
	s_mov_b32 s0, 0x16816817
	v_add_u32_e32 v25, s2, v25
	s_mov_b32 s1, 0x3f668168
	v_mad_u64_u32 v[30:31], s[6:7], s4, v38, v[24:25]
	v_add_u32_e32 v31, s2, v31
	v_mad_u64_u32 v[32:33], s[6:7], s4, v38, v[30:31]
	v_add_u32_e32 v33, s2, v33
	s_mul_i32 s3, s5, 0x1c0
	s_waitcnt vmcnt(6) lgkmcnt(2)
	v_mul_f32_e32 v34, v19, v9
	v_mul_f32_e32 v9, v18, v9
	v_fmac_f32_e32 v34, v18, v8
	v_fma_f32 v18, v8, v19, -v9
	global_load_dwordx2 v[8:9], v47, s[8:9] offset:1568
	s_waitcnt vmcnt(5) lgkmcnt(1)
	v_mul_f32_e32 v36, v3, v13
	v_mul_f32_e32 v13, v2, v13
	s_waitcnt vmcnt(4) lgkmcnt(0)
	v_mul_f32_e32 v37, v5, v15
	v_mul_f32_e32 v15, v4, v15
	v_fmac_f32_e32 v36, v2, v12
	v_fma_f32 v19, v12, v3, -v13
	v_fmac_f32_e32 v37, v4, v14
	v_fma_f32 v40, v14, v5, -v15
	v_cvt_f64_f32_e32 v[2:3], v18
	v_cvt_f64_f32_e32 v[12:13], v36
	;; [unrolled: 1-line block ×4, first 2 shown]
	global_load_dwordx2 v[36:37], v47, s[8:9] offset:1792
	v_mul_f32_e32 v35, v1, v11
	v_mul_f32_e32 v11, v0, v11
	v_fmac_f32_e32 v35, v0, v10
	v_fma_f32 v10, v10, v1, -v11
	v_cvt_f64_f32_e32 v[0:1], v34
	v_cvt_f64_f32_e32 v[4:5], v35
	;; [unrolled: 1-line block ×4, first 2 shown]
	v_mul_f64 v[0:1], v[0:1], s[0:1]
	v_mul_f64 v[2:3], v[2:3], s[0:1]
	s_waitcnt vmcnt(4)
	v_mul_f32_e32 v39, v7, v17
	v_mul_f64 v[4:5], v[4:5], s[0:1]
	v_mul_f64 v[10:11], v[10:11], s[0:1]
	;; [unrolled: 1-line block ×6, first 2 shown]
	v_cvt_f32_f64_e32 v0, v[0:1]
	v_cvt_f32_f64_e32 v1, v[2:3]
	;; [unrolled: 1-line block ×8, first 2 shown]
	global_store_dwordx2 v[22:23], v[0:1], off
	global_store_dwordx2 v[24:25], v[2:3], off
	;; [unrolled: 1-line block ×4, first 2 shown]
	v_fmac_f32_e32 v39, v6, v16
	v_cvt_f64_f32_e32 v[0:1], v39
	global_load_dwordx2 v[4:5], v47, s[8:9] offset:2016
	global_load_dwordx2 v[12:13], v47, s[8:9] offset:2240
	v_mul_f64 v[0:1], v[0:1], s[0:1]
	v_cvt_f32_f64_e32 v10, v[0:1]
	v_mul_f32_e32 v0, v6, v17
	v_fma_f32 v0, v16, v7, -v0
	v_cvt_f64_f32_e32 v[0:1], v0
	v_mul_f64 v[0:1], v[0:1], s[0:1]
	v_cvt_f32_f64_e32 v11, v[0:1]
	ds_read2_b64 v[0:3], v47 offset0:140 offset1:168
	v_mad_u64_u32 v[6:7], s[6:7], s4, v38, v[32:33]
	v_add_u32_e32 v7, s2, v7
	global_store_dwordx2 v[6:7], v[10:11], off
	s_waitcnt vmcnt(10) lgkmcnt(0)
	v_mul_f32_e32 v10, v1, v27
	v_fmac_f32_e32 v10, v0, v26
	v_mul_f32_e32 v0, v0, v27
	v_fma_f32 v0, v26, v1, -v0
	v_cvt_f64_f32_e32 v[10:11], v10
	v_cvt_f64_f32_e32 v[0:1], v0
	v_mul_f64 v[10:11], v[10:11], s[0:1]
	v_mul_f64 v[0:1], v[0:1], s[0:1]
	v_cvt_f32_f64_e32 v10, v[10:11]
	v_cvt_f32_f64_e32 v11, v[0:1]
	s_waitcnt vmcnt(9)
	v_mul_f32_e32 v0, v3, v29
	v_fmac_f32_e32 v0, v2, v28
	v_mad_u64_u32 v[6:7], s[6:7], s4, v38, v[6:7]
	v_cvt_f64_f32_e32 v[0:1], v0
	v_add_u32_e32 v7, s2, v7
	v_mul_f64 v[0:1], v[0:1], s[0:1]
	global_store_dwordx2 v[6:7], v[10:11], off
	global_load_dwordx2 v[10:11], v47, s[8:9] offset:2464
	v_cvt_f32_f64_e32 v14, v[0:1]
	v_mul_f32_e32 v0, v2, v29
	v_fma_f32 v0, v28, v3, -v0
	v_cvt_f64_f32_e32 v[0:1], v0
	v_mul_f64 v[0:1], v[0:1], s[0:1]
	v_mad_u64_u32 v[6:7], s[6:7], s4, v38, v[6:7]
	v_cvt_f32_f64_e32 v15, v[0:1]
	v_add_u32_e32 v7, s2, v7
	global_store_dwordx2 v[6:7], v[14:15], off
	global_load_dwordx2 v[14:15], v47, s[8:9] offset:2688
	ds_read2_b64 v[0:3], v47 offset0:196 offset1:224
	v_mad_u64_u32 v[6:7], s[6:7], s4, v38, v[6:7]
	v_add_u32_e32 v7, s2, v7
	v_or_b32_e32 v19, 0xe0, v184
	s_waitcnt vmcnt(12) lgkmcnt(0)
	v_mul_f32_e32 v16, v1, v9
	v_fmac_f32_e32 v16, v0, v8
	v_mul_f32_e32 v0, v0, v9
	v_fma_f32 v0, v8, v1, -v0
	v_cvt_f64_f32_e32 v[16:17], v16
	v_cvt_f64_f32_e32 v[0:1], v0
	v_mul_f64 v[16:17], v[16:17], s[0:1]
	v_mul_f64 v[0:1], v[0:1], s[0:1]
	v_cvt_f32_f64_e32 v16, v[16:17]
	v_cvt_f32_f64_e32 v17, v[0:1]
	s_waitcnt vmcnt(11)
	v_mul_f32_e32 v0, v3, v37
	v_fmac_f32_e32 v0, v2, v36
	v_cvt_f64_f32_e32 v[0:1], v0
	v_mul_f64 v[0:1], v[0:1], s[0:1]
	v_cvt_f32_f64_e32 v8, v[0:1]
	v_mul_f32_e32 v0, v2, v37
	v_fma_f32 v0, v36, v3, -v0
	v_cvt_f64_f32_e32 v[0:1], v0
	v_mul_f64 v[0:1], v[0:1], s[0:1]
	v_cvt_f32_f64_e32 v9, v[0:1]
	v_add_u32_e32 v0, 0x400, v47
	global_store_dwordx2 v[6:7], v[16:17], off
	v_mad_u64_u32 v[16:17], s[6:7], s4, v19, 0
	ds_read2_b64 v[0:3], v0 offset0:124 offset1:152
	v_mov_b32_e32 v18, v17
	v_mad_u64_u32 v[18:19], s[6:7], s5, v19, v[18:19]
	v_mov_b32_e32 v17, v18
	v_lshl_add_u64 v[16:17], v[16:17], 3, v[20:21]
	global_store_dwordx2 v[16:17], v[8:9], off
	s_waitcnt vmcnt(8) lgkmcnt(0)
	v_mul_f32_e32 v8, v1, v5
	v_fmac_f32_e32 v8, v0, v4
	v_mul_f32_e32 v0, v0, v5
	v_fma_f32 v0, v4, v1, -v0
	v_cvt_f64_f32_e32 v[8:9], v8
	v_cvt_f64_f32_e32 v[0:1], v0
	v_mul_f64 v[8:9], v[8:9], s[0:1]
	v_mul_f64 v[0:1], v[0:1], s[0:1]
	v_cvt_f32_f64_e32 v8, v[8:9]
	v_cvt_f32_f64_e32 v9, v[0:1]
	v_mov_b32_e32 v0, 0x1c0
	v_mad_u64_u32 v[4:5], s[6:7], s4, v0, v[6:7]
	s_waitcnt vmcnt(7)
	v_mul_f32_e32 v0, v3, v13
	v_fmac_f32_e32 v0, v2, v12
	v_cvt_f64_f32_e32 v[0:1], v0
	v_mul_f64 v[0:1], v[0:1], s[0:1]
	v_cvt_f32_f64_e32 v6, v[0:1]
	v_mul_f32_e32 v0, v2, v13
	v_fma_f32 v0, v12, v3, -v0
	v_cvt_f64_f32_e32 v[0:1], v0
	v_mul_f64 v[0:1], v[0:1], s[0:1]
	v_cvt_f32_f64_e32 v7, v[0:1]
	v_add_u32_e32 v0, 0x800, v47
	ds_read2_b64 v[0:3], v0 offset0:52 offset1:80
	v_add_u32_e32 v5, s3, v5
	global_store_dwordx2 v[4:5], v[8:9], off
	v_mad_u64_u32 v[4:5], s[6:7], s4, v38, v[4:5]
	v_add_u32_e32 v5, s2, v5
	global_store_dwordx2 v[4:5], v[6:7], off
	s_waitcnt vmcnt(6) lgkmcnt(0)
	v_mul_f32_e32 v6, v1, v11
	v_fmac_f32_e32 v6, v0, v10
	v_mul_f32_e32 v0, v0, v11
	v_fma_f32 v0, v10, v1, -v0
	v_cvt_f64_f32_e32 v[6:7], v6
	v_cvt_f64_f32_e32 v[0:1], v0
	v_mul_f64 v[6:7], v[6:7], s[0:1]
	v_mul_f64 v[0:1], v[0:1], s[0:1]
	v_cvt_f32_f64_e32 v6, v[6:7]
	v_cvt_f32_f64_e32 v7, v[0:1]
	v_mad_u64_u32 v[0:1], s[6:7], s4, v38, v[4:5]
	s_waitcnt vmcnt(4)
	v_mul_f32_e32 v4, v3, v15
	v_fmac_f32_e32 v4, v2, v14
	v_mul_f32_e32 v2, v2, v15
	v_fma_f32 v2, v14, v3, -v2
	v_add_u32_e32 v1, s2, v1
	v_cvt_f64_f32_e32 v[4:5], v4
	v_cvt_f64_f32_e32 v[2:3], v2
	global_store_dwordx2 v[0:1], v[6:7], off
	v_mul_f64 v[4:5], v[4:5], s[0:1]
	v_mul_f64 v[2:3], v[2:3], s[0:1]
	v_mad_u64_u32 v[0:1], s[0:1], s4, v38, v[0:1]
	v_cvt_f32_f64_e32 v4, v[4:5]
	v_cvt_f32_f64_e32 v5, v[2:3]
	v_add_u32_e32 v1, s2, v1
	global_store_dwordx2 v[0:1], v[4:5], off
.LBB0_25:
	s_endpgm
	.section	.rodata,"a",@progbits
	.p2align	6, 0x0
	.amdhsa_kernel bluestein_single_back_len364_dim1_sp_op_CI_CI
		.amdhsa_group_segment_fixed_size 2912
		.amdhsa_private_segment_fixed_size 0
		.amdhsa_kernarg_size 104
		.amdhsa_user_sgpr_count 2
		.amdhsa_user_sgpr_dispatch_ptr 0
		.amdhsa_user_sgpr_queue_ptr 0
		.amdhsa_user_sgpr_kernarg_segment_ptr 1
		.amdhsa_user_sgpr_dispatch_id 0
		.amdhsa_user_sgpr_kernarg_preload_length 0
		.amdhsa_user_sgpr_kernarg_preload_offset 0
		.amdhsa_user_sgpr_private_segment_size 0
		.amdhsa_uses_dynamic_stack 0
		.amdhsa_enable_private_segment 0
		.amdhsa_system_sgpr_workgroup_id_x 1
		.amdhsa_system_sgpr_workgroup_id_y 0
		.amdhsa_system_sgpr_workgroup_id_z 0
		.amdhsa_system_sgpr_workgroup_info 0
		.amdhsa_system_vgpr_workitem_id 0
		.amdhsa_next_free_vgpr 196
		.amdhsa_next_free_sgpr 58
		.amdhsa_accum_offset 196
		.amdhsa_reserve_vcc 1
		.amdhsa_float_round_mode_32 0
		.amdhsa_float_round_mode_16_64 0
		.amdhsa_float_denorm_mode_32 3
		.amdhsa_float_denorm_mode_16_64 3
		.amdhsa_dx10_clamp 1
		.amdhsa_ieee_mode 1
		.amdhsa_fp16_overflow 0
		.amdhsa_tg_split 0
		.amdhsa_exception_fp_ieee_invalid_op 0
		.amdhsa_exception_fp_denorm_src 0
		.amdhsa_exception_fp_ieee_div_zero 0
		.amdhsa_exception_fp_ieee_overflow 0
		.amdhsa_exception_fp_ieee_underflow 0
		.amdhsa_exception_fp_ieee_inexact 0
		.amdhsa_exception_int_div_zero 0
	.end_amdhsa_kernel
	.text
.Lfunc_end0:
	.size	bluestein_single_back_len364_dim1_sp_op_CI_CI, .Lfunc_end0-bluestein_single_back_len364_dim1_sp_op_CI_CI
                                        ; -- End function
	.section	.AMDGPU.csdata,"",@progbits
; Kernel info:
; codeLenInByte = 11220
; NumSgprs: 64
; NumVgprs: 196
; NumAgprs: 0
; TotalNumVgprs: 196
; ScratchSize: 0
; MemoryBound: 0
; FloatMode: 240
; IeeeMode: 1
; LDSByteSize: 2912 bytes/workgroup (compile time only)
; SGPRBlocks: 7
; VGPRBlocks: 24
; NumSGPRsForWavesPerEU: 64
; NumVGPRsForWavesPerEU: 196
; AccumOffset: 196
; Occupancy: 2
; WaveLimiterHint : 1
; COMPUTE_PGM_RSRC2:SCRATCH_EN: 0
; COMPUTE_PGM_RSRC2:USER_SGPR: 2
; COMPUTE_PGM_RSRC2:TRAP_HANDLER: 0
; COMPUTE_PGM_RSRC2:TGID_X_EN: 1
; COMPUTE_PGM_RSRC2:TGID_Y_EN: 0
; COMPUTE_PGM_RSRC2:TGID_Z_EN: 0
; COMPUTE_PGM_RSRC2:TIDIG_COMP_CNT: 0
; COMPUTE_PGM_RSRC3_GFX90A:ACCUM_OFFSET: 48
; COMPUTE_PGM_RSRC3_GFX90A:TG_SPLIT: 0
	.text
	.p2alignl 6, 3212836864
	.fill 256, 4, 3212836864
	.type	__hip_cuid_432aa6ea8ae46339,@object ; @__hip_cuid_432aa6ea8ae46339
	.section	.bss,"aw",@nobits
	.globl	__hip_cuid_432aa6ea8ae46339
__hip_cuid_432aa6ea8ae46339:
	.byte	0                               ; 0x0
	.size	__hip_cuid_432aa6ea8ae46339, 1

	.ident	"AMD clang version 19.0.0git (https://github.com/RadeonOpenCompute/llvm-project roc-6.4.0 25133 c7fe45cf4b819c5991fe208aaa96edf142730f1d)"
	.section	".note.GNU-stack","",@progbits
	.addrsig
	.addrsig_sym __hip_cuid_432aa6ea8ae46339
	.amdgpu_metadata
---
amdhsa.kernels:
  - .agpr_count:     0
    .args:
      - .actual_access:  read_only
        .address_space:  global
        .offset:         0
        .size:           8
        .value_kind:     global_buffer
      - .actual_access:  read_only
        .address_space:  global
        .offset:         8
        .size:           8
        .value_kind:     global_buffer
      - .actual_access:  read_only
        .address_space:  global
        .offset:         16
        .size:           8
        .value_kind:     global_buffer
      - .actual_access:  read_only
        .address_space:  global
        .offset:         24
        .size:           8
        .value_kind:     global_buffer
      - .actual_access:  read_only
        .address_space:  global
        .offset:         32
        .size:           8
        .value_kind:     global_buffer
      - .offset:         40
        .size:           8
        .value_kind:     by_value
      - .address_space:  global
        .offset:         48
        .size:           8
        .value_kind:     global_buffer
      - .address_space:  global
        .offset:         56
        .size:           8
        .value_kind:     global_buffer
      - .address_space:  global
        .offset:         64
        .size:           8
        .value_kind:     global_buffer
      - .address_space:  global
        .offset:         72
        .size:           8
        .value_kind:     global_buffer
      - .offset:         80
        .size:           4
        .value_kind:     by_value
      - .address_space:  global
        .offset:         88
        .size:           8
        .value_kind:     global_buffer
      - .address_space:  global
        .offset:         96
        .size:           8
        .value_kind:     global_buffer
    .group_segment_fixed_size: 2912
    .kernarg_segment_align: 8
    .kernarg_segment_size: 104
    .language:       OpenCL C
    .language_version:
      - 2
      - 0
    .max_flat_workgroup_size: 52
    .name:           bluestein_single_back_len364_dim1_sp_op_CI_CI
    .private_segment_fixed_size: 0
    .sgpr_count:     64
    .sgpr_spill_count: 0
    .symbol:         bluestein_single_back_len364_dim1_sp_op_CI_CI.kd
    .uniform_work_group_size: 1
    .uses_dynamic_stack: false
    .vgpr_count:     196
    .vgpr_spill_count: 0
    .wavefront_size: 64
amdhsa.target:   amdgcn-amd-amdhsa--gfx950
amdhsa.version:
  - 1
  - 2
...

	.end_amdgpu_metadata
